;; amdgpu-corpus repo=ROCm/rocFFT kind=compiled arch=gfx906 opt=O3
	.text
	.amdgcn_target "amdgcn-amd-amdhsa--gfx906"
	.amdhsa_code_object_version 6
	.protected	bluestein_single_back_len135_dim1_sp_op_CI_CI ; -- Begin function bluestein_single_back_len135_dim1_sp_op_CI_CI
	.globl	bluestein_single_back_len135_dim1_sp_op_CI_CI
	.p2align	8
	.type	bluestein_single_back_len135_dim1_sp_op_CI_CI,@function
bluestein_single_back_len135_dim1_sp_op_CI_CI: ; @bluestein_single_back_len135_dim1_sp_op_CI_CI
; %bb.0:
	v_mul_u32_u24_e32 v1, 0x1c72, v0
	s_load_dwordx4 s[16:19], s[4:5], 0x28
	v_lshrrev_b32_e32 v1, 16, v1
	v_mad_u64_u32 v[82:83], s[0:1], s6, 14, v[1:2]
	v_mov_b32_e32 v83, 0
	s_waitcnt lgkmcnt(0)
	v_cmp_gt_u64_e32 vcc, s[16:17], v[82:83]
	s_and_saveexec_b64 s[0:1], vcc
	s_cbranch_execz .LBB0_2
; %bb.1:
	v_lshrrev_b32_e32 v2, 1, v82
	s_mov_b32 s0, 0x92492493
	v_mul_hi_u32 v2, v2, s0
	s_load_dwordx4 s[0:3], s[4:5], 0x18
	s_load_dwordx4 s[8:11], s[4:5], 0x0
	v_mul_lo_u16_e32 v1, 9, v1
	v_sub_u16_e32 v97, v0, v1
	v_lshrrev_b32_e32 v2, 2, v2
	s_waitcnt lgkmcnt(0)
	s_load_dwordx4 s[12:15], s[0:1], 0x0
	v_mul_lo_u32 v2, v2, 14
	s_add_u32 s6, s8, 0x438
	s_addc_u32 s7, s9, 0
	v_lshlrev_b32_e32 v60, 3, v97
	v_sub_u32_e32 v34, v82, v2
	s_waitcnt lgkmcnt(0)
	v_mad_u64_u32 v[2:3], s[0:1], s14, v82, 0
	v_mad_u64_u32 v[0:1], s[0:1], s12, v97, 0
	;; [unrolled: 1-line block ×4, first 2 shown]
	v_lshlrev_b64 v[2:3], 3, v[2:3]
	s_mul_i32 s0, s13, 0xd8
	v_mov_b32_e32 v1, v4
	v_mov_b32_e32 v4, s19
	v_add_co_u32_e32 v2, vcc, s18, v2
	v_lshlrev_b64 v[0:1], 3, v[0:1]
	v_addc_co_u32_e32 v3, vcc, v4, v3, vcc
	v_add_co_u32_e32 v0, vcc, v2, v0
	s_mul_hi_u32 s1, s12, 0xd8
	v_addc_co_u32_e32 v1, vcc, v3, v1, vcc
	s_add_i32 s0, s1, s0
	s_mul_i32 s1, s12, 0xd8
	global_load_dwordx2 v[2:3], v[0:1], off
	v_mov_b32_e32 v4, s0
	v_add_co_u32_e32 v0, vcc, s1, v0
	v_addc_co_u32_e32 v1, vcc, v1, v4, vcc
	v_mov_b32_e32 v5, s0
	v_add_co_u32_e32 v4, vcc, s1, v0
	v_addc_co_u32_e32 v5, vcc, v1, v5, vcc
	;; [unrolled: 3-line block ×4, first 2 shown]
	v_mov_b32_e32 v95, 0xfffffce8
	global_load_dwordx2 v[93:94], v60, s[8:9]
	global_load_dwordx2 v[91:92], v60, s[8:9] offset:216
	global_load_dwordx2 v[89:90], v60, s[8:9] offset:432
	;; [unrolled: 1-line block ×3, first 2 shown]
	global_load_dwordx2 v[10:11], v[0:1], off
	global_load_dwordx2 v[12:13], v[4:5], off
	global_load_dwordx2 v[14:15], v[6:7], off
	global_load_dwordx2 v[16:17], v[8:9], off
	v_mad_u64_u32 v[0:1], s[14:15], s12, v95, v[8:9]
	s_mulk_i32 s13, 0xfce8
	s_sub_i32 s14, s13, s12
	v_add_u32_e32 v1, s14, v1
	global_load_dwordx2 v[87:88], v60, s[8:9] offset:864
	global_load_dwordx2 v[5:6], v[0:1], off
	global_load_dwordx2 v[83:84], v60, s[8:9] offset:72
	v_mov_b32_e32 v4, s0
	v_add_co_u32_e32 v0, vcc, s1, v0
	v_addc_co_u32_e32 v1, vcc, v1, v4, vcc
	global_load_dwordx2 v[7:8], v[0:1], off
	global_load_dwordx2 v[80:81], v60, s[8:9] offset:288
	v_add_co_u32_e32 v0, vcc, s1, v0
	v_addc_co_u32_e32 v1, vcc, v1, v4, vcc
	global_load_dwordx2 v[18:19], v[0:1], off
	global_load_dwordx2 v[76:77], v60, s[8:9] offset:504
	v_add_co_u32_e32 v0, vcc, s1, v0
	v_addc_co_u32_e32 v1, vcc, v1, v4, vcc
	global_load_dwordx2 v[20:21], v[0:1], off
	v_add_co_u32_e32 v0, vcc, s1, v0
	v_addc_co_u32_e32 v1, vcc, v1, v4, vcc
	v_mad_u64_u32 v[22:23], s[12:13], s12, v95, v[0:1]
	global_load_dwordx2 v[78:79], v60, s[8:9] offset:720
	global_load_dwordx2 v[24:25], v[0:1], off
	global_load_dwordx2 v[74:75], v60, s[8:9] offset:936
	v_mov_b32_e32 v59, s11
	v_add_u32_e32 v23, s14, v23
	global_load_dwordx2 v[0:1], v[22:23], off
	global_load_dwordx2 v[70:71], v60, s[8:9] offset:144
	v_add_co_u32_e32 v22, vcc, s1, v22
	v_addc_co_u32_e32 v23, vcc, v23, v4, vcc
	global_load_dwordx2 v[26:27], v[22:23], off
	global_load_dwordx2 v[68:69], v60, s[8:9] offset:360
	v_add_co_u32_e32 v22, vcc, s1, v22
	v_addc_co_u32_e32 v23, vcc, v23, v4, vcc
	global_load_dwordx2 v[28:29], v[22:23], off
	global_load_dwordx2 v[66:67], v60, s[8:9] offset:792
	global_load_dwordx2 v[72:73], v60, s[8:9] offset:576
	v_add_co_u32_e32 v22, vcc, s1, v22
	v_addc_co_u32_e32 v23, vcc, v23, v4, vcc
	global_load_dwordx2 v[30:31], v[22:23], off
	v_add_co_u32_e32 v22, vcc, s1, v22
	v_addc_co_u32_e32 v23, vcc, v23, v4, vcc
	global_load_dwordx2 v[32:33], v[22:23], off
	global_load_dwordx2 v[64:65], v60, s[8:9] offset:1008
	v_mul_u32_u24_e32 v4, 0x87, v34
	v_lshlrev_b32_e32 v43, 3, v4
	v_add_u32_e32 v96, v60, v43
	s_load_dwordx4 s[0:3], s[2:3], 0x0
	v_add_co_u32_e32 v40, vcc, 27, v97
	v_add_co_u32_e32 v41, vcc, 9, v97
	v_addc_co_u32_e64 v4, s[12:13], 0, 0, vcc
	v_add_co_u32_e32 v42, vcc, 18, v97
	v_add_co_u32_e32 v56, vcc, 36, v97
	s_load_dwordx2 s[4:5], s[4:5], 0x38
	s_waitcnt vmcnt(28)
	v_mul_f32_e32 v22, v3, v94
	v_fmac_f32_e32 v22, v2, v93
	v_mul_f32_e32 v2, v2, v94
	v_fma_f32 v23, v3, v93, -v2
	s_waitcnt vmcnt(24)
	v_mul_f32_e32 v2, v11, v92
	v_mul_f32_e32 v3, v10, v92
	v_fmac_f32_e32 v2, v10, v91
	v_fma_f32 v3, v11, v91, -v3
	ds_write_b64 v96, v[2:3] offset:216
	s_waitcnt vmcnt(23)
	v_mul_f32_e32 v2, v13, v90
	v_mul_f32_e32 v3, v12, v90
	v_fmac_f32_e32 v2, v12, v89
	v_fma_f32 v3, v13, v89, -v3
	ds_write_b64 v96, v[2:3] offset:432
	s_waitcnt vmcnt(22)
	v_mul_f32_e32 v2, v15, v86
	v_mul_f32_e32 v3, v14, v86
	v_fmac_f32_e32 v2, v14, v85
	v_fma_f32 v3, v15, v85, -v3
	ds_write_b64 v96, v[2:3] offset:648
	s_waitcnt vmcnt(20)
	v_mul_f32_e32 v2, v17, v88
	v_mul_f32_e32 v3, v16, v88
	v_fmac_f32_e32 v2, v16, v87
	v_fma_f32 v3, v17, v87, -v3
	ds_write_b64 v96, v[2:3] offset:864
	s_waitcnt vmcnt(18)
	v_mul_f32_e32 v2, v6, v84
	v_mul_f32_e32 v3, v5, v84
	v_fmac_f32_e32 v2, v5, v83
	v_fma_f32 v3, v6, v83, -v3
	ds_write2_b64 v96, v[22:23], v[2:3] offset1:9
	s_waitcnt vmcnt(16)
	v_mul_f32_e32 v2, v8, v81
	v_mul_f32_e32 v3, v7, v81
	v_fmac_f32_e32 v2, v7, v80
	v_fma_f32 v3, v8, v80, -v3
	s_waitcnt vmcnt(14)
	v_mul_f32_e32 v5, v19, v77
	v_mul_f32_e32 v6, v18, v77
	v_fmac_f32_e32 v5, v18, v76
	v_fma_f32 v6, v19, v76, -v6
	s_waitcnt vmcnt(8)
	v_mul_f32_e32 v11, v1, v71
	v_fmac_f32_e32 v11, v0, v70
	v_mul_f32_e32 v0, v0, v71
	v_fma_f32 v12, v1, v70, -v0
	v_mul_f32_e32 v7, v21, v79
	s_waitcnt vmcnt(6)
	v_mul_f32_e32 v0, v27, v69
	v_mul_f32_e32 v1, v26, v69
	v_fmac_f32_e32 v0, v26, v68
	v_fma_f32 v1, v27, v68, -v1
	ds_write2_b64 v96, v[2:3], v[0:1] offset0:36 offset1:45
	s_waitcnt vmcnt(3)
	v_mul_f32_e32 v0, v29, v73
	v_mul_f32_e32 v1, v28, v73
	v_fmac_f32_e32 v0, v28, v72
	v_fma_f32 v1, v29, v72, -v1
	v_mul_f32_e32 v8, v20, v79
	ds_write2_b64 v96, v[5:6], v[0:1] offset0:63 offset1:72
	s_waitcnt vmcnt(2)
	v_mul_f32_e32 v0, v31, v67
	v_mul_f32_e32 v1, v30, v67
	v_fmac_f32_e32 v7, v20, v78
	v_fma_f32 v8, v21, v78, -v8
	v_fmac_f32_e32 v0, v30, v66
	v_fma_f32 v1, v31, v66, -v1
	v_mul_f32_e32 v9, v25, v75
	v_mul_f32_e32 v10, v24, v75
	ds_write2_b64 v96, v[7:8], v[0:1] offset0:90 offset1:99
	s_waitcnt vmcnt(0)
	v_mul_f32_e32 v0, v33, v65
	v_mul_f32_e32 v1, v32, v65
	v_fmac_f32_e32 v9, v24, v74
	v_fma_f32 v10, v25, v74, -v10
	v_fmac_f32_e32 v0, v32, v64
	v_fma_f32 v1, v33, v64, -v1
	ds_write_b64 v96, v[11:12] offset:144
	ds_write2_b64 v96, v[9:10], v[0:1] offset0:117 offset1:126
	s_waitcnt lgkmcnt(0)
	s_barrier
	ds_read2_b64 v[0:3], v96 offset1:9
	ds_read2_b64 v[5:8], v96 offset0:18 offset1:27
	ds_read2_b64 v[9:12], v96 offset0:54 offset1:63
	;; [unrolled: 1-line block ×6, first 2 shown]
	ds_read_b64 v[29:30], v96 offset:1008
	s_waitcnt lgkmcnt(4)
	v_add_f32_e32 v32, v9, v15
	v_fma_f32 v33, -0.5, v32, v0
	s_waitcnt lgkmcnt(3)
	v_sub_f32_e32 v32, v8, v18
	v_mov_b32_e32 v35, v33
	v_fmac_f32_e32 v35, 0x3f737871, v32
	v_sub_f32_e32 v34, v10, v16
	v_sub_f32_e32 v36, v7, v9
	;; [unrolled: 1-line block ×3, first 2 shown]
	v_fmac_f32_e32 v33, 0xbf737871, v32
	v_fmac_f32_e32 v35, 0x3f167918, v34
	v_add_f32_e32 v36, v36, v37
	v_fmac_f32_e32 v33, 0xbf167918, v34
	v_fmac_f32_e32 v35, 0x3e9e377a, v36
	;; [unrolled: 1-line block ×3, first 2 shown]
	v_add_f32_e32 v36, v7, v17
	v_add_f32_e32 v31, v0, v7
	v_fma_f32 v0, -0.5, v36, v0
	v_mov_b32_e32 v37, v0
	v_fmac_f32_e32 v37, 0xbf737871, v34
	v_sub_f32_e32 v36, v9, v7
	v_sub_f32_e32 v38, v15, v17
	v_fmac_f32_e32 v0, 0x3f737871, v34
	v_add_f32_e32 v34, v10, v16
	v_add_f32_e32 v31, v31, v9
	v_fmac_f32_e32 v37, 0x3f167918, v32
	v_add_f32_e32 v36, v36, v38
	v_fmac_f32_e32 v0, 0xbf167918, v32
	v_fma_f32 v34, -0.5, v34, v1
	v_add_f32_e32 v31, v31, v15
	v_fmac_f32_e32 v37, 0x3e9e377a, v36
	v_fmac_f32_e32 v0, 0x3e9e377a, v36
	v_sub_f32_e32 v7, v7, v17
	v_mov_b32_e32 v36, v34
	v_add_f32_e32 v31, v31, v17
	v_fmac_f32_e32 v36, 0xbf737871, v7
	v_sub_f32_e32 v9, v9, v15
	v_sub_f32_e32 v15, v8, v10
	;; [unrolled: 1-line block ×3, first 2 shown]
	v_fmac_f32_e32 v34, 0x3f737871, v7
	v_fmac_f32_e32 v36, 0xbf167918, v9
	v_add_f32_e32 v15, v15, v17
	v_fmac_f32_e32 v34, 0x3f167918, v9
	v_fmac_f32_e32 v36, 0x3e9e377a, v15
	;; [unrolled: 1-line block ×3, first 2 shown]
	v_add_f32_e32 v15, v8, v18
	v_add_f32_e32 v32, v1, v8
	v_fma_f32 v1, -0.5, v15, v1
	v_mov_b32_e32 v38, v1
	v_add_f32_e32 v32, v32, v10
	v_fmac_f32_e32 v38, 0x3f737871, v9
	v_sub_f32_e32 v8, v10, v8
	v_sub_f32_e32 v10, v16, v18
	v_fmac_f32_e32 v1, 0xbf737871, v9
	v_fmac_f32_e32 v38, 0xbf167918, v7
	v_add_f32_e32 v8, v8, v10
	v_fmac_f32_e32 v1, 0x3f167918, v7
	v_fmac_f32_e32 v38, 0x3e9e377a, v8
	;; [unrolled: 1-line block ×3, first 2 shown]
	s_waitcnt lgkmcnt(1)
	v_add_f32_e32 v8, v11, v25
	v_fma_f32 v9, -0.5, v8, v2
	v_sub_f32_e32 v8, v22, v20
	v_mov_b32_e32 v15, v9
	v_add_f32_e32 v32, v32, v16
	v_fmac_f32_e32 v15, 0x3f737871, v8
	v_sub_f32_e32 v10, v12, v26
	v_sub_f32_e32 v16, v21, v11
	;; [unrolled: 1-line block ×3, first 2 shown]
	v_fmac_f32_e32 v9, 0xbf737871, v8
	v_fmac_f32_e32 v15, 0x3f167918, v10
	v_add_f32_e32 v16, v16, v17
	v_fmac_f32_e32 v9, 0xbf167918, v10
	v_fmac_f32_e32 v15, 0x3e9e377a, v16
	;; [unrolled: 1-line block ×3, first 2 shown]
	v_add_f32_e32 v16, v21, v19
	v_add_f32_e32 v7, v2, v21
	v_fma_f32 v2, -0.5, v16, v2
	v_mov_b32_e32 v17, v2
	v_add_f32_e32 v32, v32, v18
	v_add_f32_e32 v7, v7, v11
	v_fmac_f32_e32 v17, 0xbf737871, v10
	v_sub_f32_e32 v16, v11, v21
	v_sub_f32_e32 v18, v25, v19
	v_fmac_f32_e32 v2, 0x3f737871, v10
	v_add_f32_e32 v10, v12, v26
	v_add_f32_e32 v7, v7, v25
	v_fmac_f32_e32 v17, 0x3f167918, v8
	v_add_f32_e32 v16, v16, v18
	v_fmac_f32_e32 v2, 0xbf167918, v8
	v_fma_f32 v10, -0.5, v10, v3
	v_add_f32_e32 v7, v7, v19
	v_fmac_f32_e32 v17, 0x3e9e377a, v16
	v_fmac_f32_e32 v2, 0x3e9e377a, v16
	v_sub_f32_e32 v19, v21, v19
	v_mov_b32_e32 v16, v10
	v_fmac_f32_e32 v16, 0xbf737871, v19
	v_sub_f32_e32 v11, v11, v25
	v_sub_f32_e32 v18, v22, v12
	;; [unrolled: 1-line block ×3, first 2 shown]
	v_fmac_f32_e32 v10, 0x3f737871, v19
	v_fmac_f32_e32 v16, 0xbf167918, v11
	v_add_f32_e32 v18, v18, v21
	v_fmac_f32_e32 v10, 0x3f167918, v11
	v_add_f32_e32 v8, v3, v22
	v_fmac_f32_e32 v16, 0x3e9e377a, v18
	v_fmac_f32_e32 v10, 0x3e9e377a, v18
	v_add_f32_e32 v18, v22, v20
	v_add_f32_e32 v8, v8, v12
	v_fmac_f32_e32 v3, -0.5, v18
	v_add_f32_e32 v8, v8, v26
	v_mov_b32_e32 v18, v3
	v_add_f32_e32 v8, v8, v20
	v_fmac_f32_e32 v18, 0x3f737871, v11
	v_sub_f32_e32 v12, v12, v22
	v_sub_f32_e32 v20, v26, v20
	v_fmac_f32_e32 v3, 0xbf737871, v11
	v_fmac_f32_e32 v18, 0xbf167918, v19
	v_add_f32_e32 v12, v12, v20
	v_fmac_f32_e32 v3, 0x3f167918, v19
	v_fmac_f32_e32 v18, 0x3e9e377a, v12
	;; [unrolled: 1-line block ×3, first 2 shown]
	v_add_f32_e32 v12, v13, v27
	v_fma_f32 v19, -0.5, v12, v5
	s_waitcnt lgkmcnt(0)
	v_sub_f32_e32 v12, v24, v30
	v_mov_b32_e32 v21, v19
	v_fmac_f32_e32 v21, 0x3f737871, v12
	v_sub_f32_e32 v20, v14, v28
	v_sub_f32_e32 v22, v23, v13
	;; [unrolled: 1-line block ×3, first 2 shown]
	v_fmac_f32_e32 v19, 0xbf737871, v12
	v_fmac_f32_e32 v21, 0x3f167918, v20
	v_add_f32_e32 v22, v22, v25
	v_fmac_f32_e32 v19, 0xbf167918, v20
	v_fmac_f32_e32 v21, 0x3e9e377a, v22
	;; [unrolled: 1-line block ×3, first 2 shown]
	v_add_f32_e32 v22, v23, v29
	v_add_f32_e32 v11, v5, v23
	v_fma_f32 v5, -0.5, v22, v5
	v_mov_b32_e32 v25, v5
	v_fmac_f32_e32 v25, 0xbf737871, v20
	v_sub_f32_e32 v22, v13, v23
	v_sub_f32_e32 v26, v27, v29
	v_fmac_f32_e32 v5, 0x3f737871, v20
	v_add_f32_e32 v20, v14, v28
	v_fmac_f32_e32 v25, 0x3f167918, v12
	v_add_f32_e32 v22, v22, v26
	v_fmac_f32_e32 v5, 0xbf167918, v12
	v_fma_f32 v20, -0.5, v20, v6
	v_add_f32_e32 v11, v11, v13
	v_fmac_f32_e32 v25, 0x3e9e377a, v22
	v_fmac_f32_e32 v5, 0x3e9e377a, v22
	v_sub_f32_e32 v23, v23, v29
	v_mov_b32_e32 v22, v20
	v_add_f32_e32 v11, v11, v27
	v_fmac_f32_e32 v22, 0xbf737871, v23
	v_sub_f32_e32 v13, v13, v27
	v_sub_f32_e32 v26, v24, v14
	;; [unrolled: 1-line block ×3, first 2 shown]
	v_fmac_f32_e32 v20, 0x3f737871, v23
	v_fmac_f32_e32 v22, 0xbf167918, v13
	v_add_f32_e32 v26, v26, v27
	v_fmac_f32_e32 v20, 0x3f167918, v13
	v_fmac_f32_e32 v22, 0x3e9e377a, v26
	;; [unrolled: 1-line block ×3, first 2 shown]
	v_add_f32_e32 v26, v24, v30
	v_add_f32_e32 v12, v6, v24
	v_fmac_f32_e32 v6, -0.5, v26
	v_mov_b32_e32 v26, v6
	v_fmac_f32_e32 v26, 0x3f737871, v13
	v_fmac_f32_e32 v6, 0xbf737871, v13
	v_mul_lo_u16_e32 v13, 5, v97
	v_lshl_add_u32 v105, v13, 3, v43
	s_barrier
	ds_write2_b64 v105, v[31:32], v[35:36] offset1:1
	ds_write2_b64 v105, v[37:38], v[0:1] offset0:2 offset1:3
	ds_write_b64 v105, v[33:34] offset:32
	v_mul_u32_u24_e32 v0, 5, v41
	v_lshl_add_u32 v104, v0, 3, v43
	v_mul_u32_u24_e32 v0, 5, v42
	v_add_f32_e32 v12, v12, v14
	v_sub_f32_e32 v14, v14, v24
	v_sub_f32_e32 v24, v28, v30
	v_lshl_add_u32 v103, v0, 3, v43
	v_add_co_u32_e32 v0, vcc, -5, v97
	v_fmac_f32_e32 v26, 0xbf167918, v23
	v_add_f32_e32 v14, v14, v24
	v_fmac_f32_e32 v6, 0x3f167918, v23
	v_addc_co_u32_e64 v1, s[12:13], 0, -1, vcc
	v_cmp_gt_u16_e32 vcc, 5, v97
	v_fmac_f32_e32 v26, 0x3e9e377a, v14
	v_fmac_f32_e32 v6, 0x3e9e377a, v14
	v_cndmask_b32_e64 v14, v1, 0, vcc
	v_cndmask_b32_e32 v13, v0, v97, vcc
	v_lshlrev_b64 v[0:1], 4, v[13:14]
	v_add_f32_e32 v12, v12, v28
	v_add_co_u32_e32 v0, vcc, s10, v0
	v_add_f32_e32 v11, v11, v29
	v_add_f32_e32 v12, v12, v30
	v_addc_co_u32_e32 v1, vcc, v59, v1, vcc
	s_movk_i32 s12, 0xcd
	ds_write2_b64 v104, v[7:8], v[15:16] offset1:1
	ds_write2_b64 v104, v[17:18], v[2:3] offset0:2 offset1:3
	ds_write_b64 v104, v[9:10] offset:32
	ds_write2_b64 v103, v[11:12], v[21:22] offset1:1
	ds_write2_b64 v103, v[25:26], v[5:6] offset0:2 offset1:3
	ds_write_b64 v103, v[19:20] offset:32
	s_waitcnt lgkmcnt(0)
	s_barrier
	global_load_dwordx4 v[32:35], v[0:1], off
	v_mul_lo_u16_sdwa v0, v41, s12 dst_sel:DWORD dst_unused:UNUSED_PAD src0_sel:BYTE_0 src1_sel:DWORD
	v_lshrrev_b16_e32 v57, 10, v0
	v_mul_lo_u16_e32 v0, 5, v57
	v_sub_u16_e32 v58, v41, v0
	v_lshlrev_b16_e32 v0, 1, v58
	v_and_b32_e32 v0, 0xfe, v0
	v_lshlrev_b32_e32 v0, 3, v0
	global_load_dwordx4 v[16:19], v0, s[10:11]
	v_mul_lo_u16_sdwa v0, v42, s12 dst_sel:DWORD dst_unused:UNUSED_PAD src0_sel:BYTE_0 src1_sel:DWORD
	v_lshrrev_b16_e32 v61, 10, v0
	v_mul_lo_u16_e32 v0, 5, v61
	v_sub_u16_e32 v62, v42, v0
	v_lshlrev_b16_e32 v0, 1, v62
	v_and_b32_e32 v0, 0xfe, v0
	v_lshlrev_b32_e32 v0, 3, v0
	global_load_dwordx4 v[24:27], v0, s[10:11]
	;; [unrolled: 8-line block ×4, first 2 shown]
	ds_read2_b64 v[0:3], v96 offset1:9
	ds_read2_b64 v[5:8], v96 offset0:36 offset1:45
	ds_read2_b64 v[9:12], v96 offset0:90 offset1:99
	;; [unrolled: 1-line block ×6, first 2 shown]
	ds_read_b64 v[14:15], v96 offset:1008
	v_cmp_lt_u16_e32 vcc, 4, v97
	s_waitcnt vmcnt(0) lgkmcnt(0)
	s_barrier
	v_mul_f32_e32 v98, v8, v33
	v_fma_f32 v98, v7, v32, -v98
	v_mul_f32_e32 v99, v7, v33
	v_mul_f32_e32 v7, v10, v35
	v_fma_f32 v100, v9, v34, -v7
	v_fmac_f32_e32 v99, v8, v32
	v_mul_f32_e32 v107, v9, v35
	v_add_f32_e32 v8, v98, v100
	v_mul_f32_e32 v7, v21, v17
	v_fma_f32 v108, v20, v16, -v7
	v_mul_f32_e32 v20, v20, v17
	v_mul_f32_e32 v7, v12, v19
	v_fmac_f32_e32 v20, v21, v16
	v_fma_f32 v21, v11, v18, -v7
	v_fmac_f32_e32 v107, v10, v34
	v_add_f32_e32 v10, v99, v107
	v_mul_f32_e32 v7, v23, v25
	v_fma_f32 v110, v22, v24, -v7
	v_mul_f32_e32 v7, v49, v27
	v_fma_f32 v112, v48, v26, -v7
	v_mul_f32_e32 v109, v11, v19
	v_fmac_f32_e32 v109, v12, v18
	v_sub_f32_e32 v11, v98, v100
	v_add_f32_e32 v12, v108, v21
	v_mul_f32_e32 v7, v53, v29
	v_fma_f32 v113, v52, v28, -v7
	v_mul_f32_e32 v52, v52, v29
	v_mul_f32_e32 v7, v51, v31
	v_fmac_f32_e32 v52, v53, v28
	v_fma_f32 v53, v50, v30, -v7
	v_mul_f32_e32 v111, v22, v25
	v_fmac_f32_e32 v111, v23, v24
	v_mul_f32_e32 v7, v55, v37
	v_fma_f32 v115, v54, v36, -v7
	v_mul_f32_e32 v116, v54, v37
	v_mul_f32_e32 v7, v15, v39
	v_fmac_f32_e32 v116, v55, v36
	v_fma_f32 v55, v14, v38, -v7
	v_add_f32_e32 v7, v0, v98
	v_fma_f32 v0, -0.5, v8, v0
	v_sub_f32_e32 v8, v99, v107
	v_mov_b32_e32 v9, v0
	v_fmac_f32_e32 v9, 0x3f5db3d7, v8
	v_fmac_f32_e32 v0, 0xbf5db3d7, v8
	v_add_f32_e32 v8, v1, v99
	v_fma_f32 v1, -0.5, v10, v1
	v_mov_b32_e32 v10, v1
	v_mul_f32_e32 v117, v14, v39
	v_fmac_f32_e32 v10, 0xbf5db3d7, v11
	v_fmac_f32_e32 v1, 0x3f5db3d7, v11
	v_add_f32_e32 v11, v2, v108
	v_fma_f32 v2, -0.5, v12, v2
	v_fmac_f32_e32 v117, v15, v38
	v_sub_f32_e32 v12, v20, v109
	v_mov_b32_e32 v14, v2
	v_add_f32_e32 v15, v20, v109
	v_mul_f32_e32 v23, v48, v27
	v_add_f32_e32 v11, v11, v21
	v_fmac_f32_e32 v14, 0x3f5db3d7, v12
	v_fmac_f32_e32 v2, 0xbf5db3d7, v12
	v_add_f32_e32 v12, v3, v20
	v_fmac_f32_e32 v3, -0.5, v15
	v_sub_f32_e32 v20, v108, v21
	v_add_f32_e32 v21, v110, v112
	v_fmac_f32_e32 v23, v49, v26
	v_mov_b32_e32 v15, v3
	v_fma_f32 v22, -0.5, v21, v44
	v_fmac_f32_e32 v15, 0xbf5db3d7, v20
	v_fmac_f32_e32 v3, 0x3f5db3d7, v20
	v_add_f32_e32 v20, v44, v110
	v_sub_f32_e32 v21, v111, v23
	v_mov_b32_e32 v44, v22
	v_fmac_f32_e32 v44, 0x3f5db3d7, v21
	v_fmac_f32_e32 v22, 0xbf5db3d7, v21
	v_add_f32_e32 v21, v45, v111
	v_add_f32_e32 v21, v21, v23
	v_add_f32_e32 v23, v111, v23
	v_fma_f32 v23, -0.5, v23, v45
	v_mul_f32_e32 v114, v50, v31
	v_sub_f32_e32 v48, v110, v112
	v_mov_b32_e32 v45, v23
	v_add_f32_e32 v49, v113, v53
	v_fmac_f32_e32 v114, v51, v30
	v_fmac_f32_e32 v45, 0xbf5db3d7, v48
	;; [unrolled: 1-line block ×3, first 2 shown]
	v_add_f32_e32 v48, v46, v113
	v_fma_f32 v46, -0.5, v49, v46
	v_sub_f32_e32 v49, v52, v114
	v_mov_b32_e32 v50, v46
	v_add_f32_e32 v51, v52, v114
	v_fmac_f32_e32 v50, 0x3f5db3d7, v49
	v_fmac_f32_e32 v46, 0xbf5db3d7, v49
	v_add_f32_e32 v49, v47, v52
	v_fmac_f32_e32 v47, -0.5, v51
	v_add_f32_e32 v48, v48, v53
	v_sub_f32_e32 v52, v113, v53
	v_mov_b32_e32 v51, v47
	v_add_f32_e32 v53, v115, v55
	v_fmac_f32_e32 v51, 0xbf5db3d7, v52
	v_fmac_f32_e32 v47, 0x3f5db3d7, v52
	v_add_f32_e32 v52, v5, v115
	v_fma_f32 v5, -0.5, v53, v5
	v_sub_f32_e32 v53, v116, v117
	v_mov_b32_e32 v54, v5
	v_add_f32_e32 v98, v116, v117
	v_fmac_f32_e32 v54, 0x3f5db3d7, v53
	v_fmac_f32_e32 v5, 0xbf5db3d7, v53
	v_add_f32_e32 v53, v6, v116
	v_fmac_f32_e32 v6, -0.5, v98
	v_add_f32_e32 v52, v52, v55
	v_sub_f32_e32 v98, v115, v55
	v_mov_b32_e32 v55, v6
	v_fmac_f32_e32 v55, 0xbf5db3d7, v98
	v_fmac_f32_e32 v6, 0x3f5db3d7, v98
	v_cndmask_b32_e64 v98, 0, 15, vcc
	v_add_u32_e32 v13, v13, v98
	v_add_f32_e32 v7, v7, v100
	v_add_f32_e32 v8, v8, v107
	v_lshl_add_u32 v98, v13, 3, v43
	ds_write2_b64 v98, v[7:8], v[9:10] offset1:5
	ds_write_b64 v98, v[0:1] offset:80
	v_mad_legacy_u16 v0, v57, 15, v58
	v_and_b32_e32 v0, 0xff, v0
	v_lshl_add_u32 v99, v0, 3, v43
	v_mad_legacy_u16 v0, v61, 15, v62
	v_and_b32_e32 v0, 0xff, v0
	v_lshl_add_u32 v100, v0, 3, v43
	;; [unrolled: 3-line block ×3, first 2 shown]
	v_mad_legacy_u16 v0, v102, 15, v106
	v_and_b32_e32 v0, 0xff, v0
	v_add_f32_e32 v12, v12, v109
	v_add_f32_e32 v20, v20, v112
	;; [unrolled: 1-line block ×4, first 2 shown]
	v_lshl_add_u32 v102, v0, 3, v43
	ds_write2_b64 v99, v[11:12], v[14:15] offset1:5
	ds_write_b64 v99, v[2:3] offset:80
	ds_write2_b64 v100, v[20:21], v[44:45] offset1:5
	ds_write_b64 v100, v[22:23] offset:80
	;; [unrolled: 2-line block ×4, first 2 shown]
	v_add_co_u32_e32 v5, vcc, -6, v97
	v_addc_co_u32_e64 v6, s[12:13], 0, -1, vcc
	v_cmp_gt_u16_e32 vcc, 6, v97
	v_cndmask_b32_e32 v58, v6, v4, vcc
	v_cndmask_b32_e32 v57, v5, v41, vcc
	v_lshlrev_b64 v[4:5], 4, v[57:58]
	s_movk_i32 s12, 0x89
	v_add_co_u32_e32 v12, vcc, s10, v4
	v_lshlrev_b32_e32 v44, 4, v97
	v_addc_co_u32_e32 v13, vcc, v59, v5, vcc
	v_mul_lo_u16_sdwa v20, v56, s12 dst_sel:DWORD dst_unused:UNUSED_PAD src0_sel:BYTE_0 src1_sel:DWORD
	s_waitcnt lgkmcnt(0)
	s_barrier
	global_load_dwordx4 v[0:3], v44, s[10:11] offset:80
	global_load_dwordx4 v[4:7], v[12:13], off offset:80
	global_load_dwordx4 v[8:11], v44, s[10:11] offset:128
	v_mul_lo_u16_sdwa v12, v40, s12 dst_sel:DWORD dst_unused:UNUSED_PAD src0_sel:BYTE_0 src1_sel:DWORD
	v_lshrrev_b16_e32 v20, 11, v20
	v_lshrrev_b16_e32 v55, 11, v12
	v_mul_lo_u16_e32 v20, 15, v20
	v_mul_lo_u16_e32 v12, 15, v55
	v_sub_u16_e32 v122, v56, v20
	v_sub_u16_e32 v63, v40, v12
	v_mov_b32_e32 v12, 4
	v_lshlrev_b16_e32 v20, 4, v122
	v_lshlrev_b32_sdwa v12, v12, v63 dst_sel:DWORD dst_unused:UNUSED_PAD src0_sel:DWORD src1_sel:BYTE_0
	v_and_b32_e32 v20, 0xf0, v20
	global_load_dwordx4 v[12:15], v12, s[10:11] offset:80
	v_add_co_u32_e32 v20, vcc, s10, v20
	v_addc_co_u32_e32 v21, vcc, 0, v59, vcc
	global_load_dwordx4 v[20:23], v[20:21], off offset:80
	ds_read2_b64 v[45:48], v96 offset1:9
	ds_read2_b64 v[49:52], v96 offset0:36 offset1:45
	ds_read2_b64 v[106:109], v96 offset0:90 offset1:99
	;; [unrolled: 1-line block ×5, first 2 shown]
	v_cmp_lt_u16_e32 vcc, 5, v97
	v_lshlrev_b32_e32 v41, 4, v41
	v_lshlrev_b32_e32 v56, 4, v56
	;; [unrolled: 1-line block ×3, first 2 shown]
	s_waitcnt vmcnt(3) lgkmcnt(3)
	v_mul_f32_e32 v58, v109, v7
	v_fma_f32 v123, v108, v6, -v58
	v_mul_f32_e32 v108, v108, v7
	s_waitcnt lgkmcnt(2)
	v_mul_f32_e32 v58, v111, v5
	v_fmac_f32_e32 v108, v109, v6
	v_fma_f32 v109, v110, v4, -v58
	v_mul_f32_e32 v110, v110, v5
	s_waitcnt vmcnt(2)
	v_mul_f32_e32 v58, v113, v9
	v_fmac_f32_e32 v110, v111, v4
	v_fma_f32 v111, v112, v8, -v58
	v_mul_f32_e32 v112, v112, v9
	s_waitcnt lgkmcnt(1)
	v_mul_f32_e32 v58, v115, v11
	v_mul_f32_e32 v53, v52, v1
	v_fmac_f32_e32 v112, v113, v8
	v_fma_f32 v113, v114, v10, -v58
	v_mul_f32_e32 v114, v114, v11
	s_waitcnt vmcnt(1)
	v_mul_f32_e32 v58, v117, v15
	v_fma_f32 v53, v51, v0, -v53
	v_mul_f32_e32 v54, v107, v3
	v_fmac_f32_e32 v114, v115, v10
	v_fma_f32 v115, v116, v14, -v58
	v_mul_f32_e32 v116, v116, v15
	s_waitcnt lgkmcnt(0)
	v_mul_f32_e32 v58, v119, v13
	v_mul_f32_e32 v51, v51, v1
	v_fma_f32 v54, v106, v2, -v54
	v_mul_f32_e32 v61, v106, v3
	v_fmac_f32_e32 v116, v117, v14
	v_fma_f32 v117, v118, v12, -v58
	v_mul_f32_e32 v118, v118, v13
	s_waitcnt vmcnt(0)
	v_mul_f32_e32 v58, v121, v21
	v_fmac_f32_e32 v51, v52, v0
	v_add_f32_e32 v52, v45, v53
	v_fmac_f32_e32 v61, v107, v2
	v_fmac_f32_e32 v118, v119, v12
	v_fma_f32 v119, v120, v20, -v58
	v_mul_f32_e32 v120, v120, v21
	v_add_f32_e32 v58, v52, v54
	v_add_f32_e32 v52, v46, v51
	v_fmac_f32_e32 v120, v121, v20
	v_add_f32_e32 v59, v52, v61
	v_sub_f32_e32 v121, v51, v61
	v_add_f32_e32 v51, v51, v61
	v_add_f32_e32 v52, v53, v54
	v_fma_f32 v45, -0.5, v52, v45
	v_fma_f32 v46, -0.5, v51, v46
	v_sub_f32_e32 v124, v53, v54
	ds_read_b64 v[106:107], v96 offset:1008
	ds_read2_b64 v[51:54], v96 offset0:18 offset1:27
	v_mov_b32_e32 v61, v45
	v_mov_b32_e32 v62, v46
	v_fmac_f32_e32 v45, 0xbf5db3d7, v121
	v_fmac_f32_e32 v46, 0x3f5db3d7, v124
	;; [unrolled: 1-line block ×4, first 2 shown]
	s_waitcnt lgkmcnt(0)
	s_barrier
	ds_write_b64 v96, v[45:46] offset:240
	v_add_f32_e32 v45, v109, v123
	ds_write2_b64 v96, v[58:59], v[61:62] offset1:15
	v_mul_f32_e32 v58, v107, v23
	v_add_f32_e32 v46, v47, v109
	v_fma_f32 v47, -0.5, v45, v47
	v_fma_f32 v125, v106, v22, -v58
	v_sub_f32_e32 v58, v110, v108
	v_mov_b32_e32 v45, v47
	v_fmac_f32_e32 v45, 0x3f5db3d7, v58
	v_fmac_f32_e32 v47, 0xbf5db3d7, v58
	v_add_f32_e32 v58, v46, v123
	v_add_f32_e32 v46, v48, v110
	;; [unrolled: 1-line block ×4, first 2 shown]
	v_fmac_f32_e32 v48, -0.5, v46
	v_sub_f32_e32 v61, v109, v123
	v_mov_b32_e32 v46, v48
	v_fmac_f32_e32 v46, 0xbf5db3d7, v61
	v_fmac_f32_e32 v48, 0x3f5db3d7, v61
	v_cndmask_b32_e64 v61, 0, 45, vcc
	v_add_u32_e32 v57, v57, v61
	v_add_f32_e32 v61, v111, v113
	v_fma_f32 v61, -0.5, v61, v51
	v_add_f32_e32 v51, v51, v111
	v_mul_f32_e32 v106, v106, v23
	v_add_f32_e32 v109, v51, v113
	v_add_f32_e32 v51, v52, v112
	v_fmac_f32_e32 v106, v107, v22
	v_sub_f32_e32 v62, v112, v114
	v_mov_b32_e32 v107, v61
	v_add_f32_e32 v110, v51, v114
	v_add_f32_e32 v51, v112, v114
	v_fmac_f32_e32 v107, 0x3f5db3d7, v62
	v_fmac_f32_e32 v61, 0xbf5db3d7, v62
	v_fma_f32 v62, -0.5, v51, v52
	v_sub_f32_e32 v51, v111, v113
	v_mov_b32_e32 v108, v62
	v_fmac_f32_e32 v108, 0xbf5db3d7, v51
	v_fmac_f32_e32 v62, 0x3f5db3d7, v51
	v_add_f32_e32 v51, v117, v115
	v_add_f32_e32 v52, v53, v117
	v_fma_f32 v53, -0.5, v51, v53
	v_sub_f32_e32 v111, v118, v116
	v_mov_b32_e32 v51, v53
	v_fmac_f32_e32 v51, 0x3f5db3d7, v111
	v_fmac_f32_e32 v53, 0xbf5db3d7, v111
	v_add_f32_e32 v111, v52, v115
	v_add_f32_e32 v52, v54, v118
	;; [unrolled: 1-line block ×4, first 2 shown]
	v_fmac_f32_e32 v54, -0.5, v52
	v_sub_f32_e32 v113, v117, v115
	v_mov_b32_e32 v52, v54
	v_fmac_f32_e32 v52, 0xbf5db3d7, v113
	v_fmac_f32_e32 v54, 0x3f5db3d7, v113
	v_add_f32_e32 v113, v119, v125
	v_add_f32_e32 v114, v49, v119
	v_fma_f32 v49, -0.5, v113, v49
	v_sub_f32_e32 v115, v120, v106
	v_mov_b32_e32 v113, v49
	v_fmac_f32_e32 v113, 0x3f5db3d7, v115
	v_fmac_f32_e32 v49, 0xbf5db3d7, v115
	v_add_f32_e32 v115, v114, v125
	v_add_f32_e32 v114, v50, v120
	v_add_f32_e32 v116, v114, v106
	v_add_f32_e32 v106, v120, v106
	v_fmac_f32_e32 v50, -0.5, v106
	v_sub_f32_e32 v106, v119, v125
	v_mov_b32_e32 v114, v50
	v_fmac_f32_e32 v114, 0xbf5db3d7, v106
	v_fmac_f32_e32 v50, 0x3f5db3d7, v106
	v_lshl_add_u32 v106, v57, 3, v43
	ds_write2_b64 v106, v[58:59], v[45:46] offset1:15
	ds_write_b64 v106, v[47:48] offset:240
	ds_write2_b64 v96, v[109:110], v[107:108] offset0:48 offset1:63
	ds_write_b64 v96, v[61:62] offset:624
	v_mul_u32_u24_e32 v45, 45, v55
	v_add_u32_sdwa v45, v45, v63 dst_sel:DWORD dst_unused:UNUSED_PAD src0_sel:DWORD src1_sel:BYTE_0
	v_lshl_add_u32 v107, v45, 3, v43
	v_and_b32_e32 v45, 0xff, v122
	v_lshl_add_u32 v108, v45, 3, v43
	ds_write2_b64 v107, v[111:112], v[51:52] offset1:15
	ds_write_b64 v107, v[53:54] offset:240
	ds_write2_b64 v108, v[115:116], v[113:114] offset0:90 offset1:105
	ds_write_b64 v108, v[49:50] offset:960
	s_waitcnt lgkmcnt(0)
	s_barrier
	global_load_dwordx4 v[44:47], v44, s[10:11] offset:320
	s_nop 0
	global_load_dwordx4 v[48:51], v41, s[10:11] offset:320
	s_nop 0
	global_load_dwordx4 v[56:59], v56, s[10:11] offset:320
	v_lshlrev_b32_e32 v41, 4, v42
	global_load_dwordx4 v[52:55], v41, s[10:11] offset:320
	s_nop 0
	global_load_dwordx4 v[40:43], v40, s[10:11] offset:320
	ds_read2_b64 v[109:112], v96 offset0:90 offset1:99
	ds_read2_b64 v[113:116], v96 offset0:54 offset1:63
	;; [unrolled: 1-line block ×4, first 2 shown]
	s_waitcnt vmcnt(4) lgkmcnt(3)
	v_mul_f32_e32 v61, v110, v47
	v_fma_f32 v63, v109, v46, -v61
	s_waitcnt vmcnt(3)
	v_mul_f32_e32 v61, v112, v51
	v_mul_f32_e32 v125, v109, v47
	v_fma_f32 v126, v111, v50, -v61
	v_mul_f32_e32 v127, v111, v51
	s_waitcnt lgkmcnt(2)
	v_mul_f32_e32 v61, v114, v49
	v_fmac_f32_e32 v125, v110, v46
	v_fmac_f32_e32 v127, v112, v50
	v_fma_f32 v128, v113, v48, -v61
	s_waitcnt vmcnt(1)
	v_mul_f32_e32 v61, v116, v53
	ds_read2_b64 v[109:112], v96 offset0:36 offset1:45
	v_fma_f32 v130, v115, v52, -v61
	s_waitcnt lgkmcnt(2)
	v_mul_f32_e32 v61, v118, v55
	v_mul_f32_e32 v129, v113, v49
	v_mul_f32_e32 v131, v115, v53
	v_fma_f32 v132, v117, v54, -v61
	s_waitcnt vmcnt(0)
	v_mul_f32_e32 v61, v120, v43
	v_fmac_f32_e32 v129, v114, v48
	v_fmac_f32_e32 v131, v116, v52
	v_fma_f32 v134, v119, v42, -v61
	s_waitcnt lgkmcnt(1)
	v_mul_f32_e32 v61, v122, v41
	ds_read2_b64 v[113:116], v96 offset1:9
	v_fma_f32 v136, v121, v40, -v61
	v_mul_f32_e32 v121, v121, v41
	v_mul_f32_e32 v61, v124, v57
	v_fmac_f32_e32 v121, v122, v40
	v_fma_f32 v122, v123, v56, -v61
	s_waitcnt lgkmcnt(1)
	v_mul_f32_e32 v61, v112, v45
	v_mul_f32_e32 v135, v119, v43
	v_fma_f32 v119, v111, v44, -v61
	v_mul_f32_e32 v111, v111, v45
	v_mul_f32_e32 v123, v123, v57
	v_fmac_f32_e32 v111, v112, v44
	v_mul_f32_e32 v133, v117, v55
	v_fmac_f32_e32 v123, v124, v56
	s_waitcnt lgkmcnt(0)
	v_add_f32_e32 v62, v114, v111
	v_sub_f32_e32 v124, v111, v125
	v_add_f32_e32 v111, v111, v125
	v_fmac_f32_e32 v133, v118, v54
	v_add_f32_e32 v61, v113, v119
	v_add_f32_e32 v112, v119, v63
	v_fma_f32 v118, -0.5, v111, v114
	v_fmac_f32_e32 v135, v120, v42
	v_add_f32_e32 v61, v61, v63
	v_fma_f32 v117, -0.5, v112, v113
	v_sub_f32_e32 v63, v119, v63
	v_mov_b32_e32 v120, v118
	v_mov_b32_e32 v119, v117
	v_fmac_f32_e32 v120, 0xbf5db3d7, v63
	v_fmac_f32_e32 v117, 0xbf5db3d7, v124
	v_fmac_f32_e32 v118, 0x3f5db3d7, v63
	v_add_f32_e32 v63, v115, v128
	ds_read2_b64 v[111:114], v96 offset0:18 offset1:27
	ds_write_b64 v96, v[117:118] offset:720
	v_add_f32_e32 v117, v63, v126
	v_add_f32_e32 v63, v116, v129
	;; [unrolled: 1-line block ×3, first 2 shown]
	v_fmac_f32_e32 v119, 0x3f5db3d7, v124
	v_add_f32_e32 v118, v63, v127
	ds_write_b64 v96, v[119:120] offset:360
	ds_read_b64 v[119:120], v96 offset:1008
	ds_write2_b64 v96, v[61:62], v[117:118] offset1:9
	v_add_f32_e32 v61, v128, v126
	v_fma_f32 v115, -0.5, v61, v115
	v_add_f32_e32 v61, v129, v127
	v_sub_f32_e32 v63, v129, v127
	v_fmac_f32_e32 v116, -0.5, v61
	v_sub_f32_e32 v117, v128, v126
	v_mov_b32_e32 v61, v115
	v_fmac_f32_e32 v115, 0xbf5db3d7, v63
	v_mov_b32_e32 v62, v116
	v_fmac_f32_e32 v116, 0x3f5db3d7, v117
	v_fmac_f32_e32 v61, 0x3f5db3d7, v63
	v_add_f32_e32 v63, v130, v132
	ds_write_b64 v96, v[115:116] offset:792
	s_waitcnt lgkmcnt(5)
	v_fma_f32 v115, -0.5, v63, v111
	v_add_f32_e32 v63, v131, v133
	v_fma_f32 v116, -0.5, v63, v112
	v_fmac_f32_e32 v62, 0xbf5db3d7, v117
	v_sub_f32_e32 v63, v131, v133
	v_mov_b32_e32 v117, v115
	v_mov_b32_e32 v118, v116
	v_sub_f32_e32 v124, v130, v132
	v_fmac_f32_e32 v117, 0x3f5db3d7, v63
	v_fmac_f32_e32 v118, 0xbf5db3d7, v124
	ds_write2_b64 v96, v[61:62], v[117:118] offset0:54 offset1:63
	v_add_f32_e32 v61, v111, v130
	v_add_f32_e32 v62, v112, v131
	;; [unrolled: 1-line block ×8, first 2 shown]
	ds_write2_b64 v96, v[61:62], v[111:112] offset0:18 offset1:27
	s_waitcnt lgkmcnt(4)
	v_mul_f32_e32 v61, v120, v59
	v_fma_f32 v112, v119, v58, -v61
	v_add_f32_e32 v61, v136, v134
	v_fma_f32 v113, -0.5, v61, v113
	v_sub_f32_e32 v62, v121, v135
	v_mov_b32_e32 v61, v113
	v_fmac_f32_e32 v61, 0x3f5db3d7, v62
	v_fmac_f32_e32 v113, 0xbf5db3d7, v62
	v_add_f32_e32 v62, v121, v135
	v_fmac_f32_e32 v114, -0.5, v62
	v_mul_f32_e32 v119, v119, v59
	v_fmac_f32_e32 v115, 0xbf5db3d7, v63
	v_sub_f32_e32 v63, v136, v134
	v_mov_b32_e32 v62, v114
	v_add_f32_e32 v111, v122, v112
	v_fmac_f32_e32 v119, v120, v58
	v_fmac_f32_e32 v62, 0xbf5db3d7, v63
	;; [unrolled: 1-line block ×3, first 2 shown]
	v_add_f32_e32 v63, v109, v122
	v_fma_f32 v109, -0.5, v111, v109
	v_sub_f32_e32 v117, v123, v119
	v_mov_b32_e32 v111, v109
	v_fmac_f32_e32 v111, 0x3f5db3d7, v117
	v_fmac_f32_e32 v109, 0xbf5db3d7, v117
	v_add_f32_e32 v117, v63, v112
	v_add_f32_e32 v63, v110, v123
	;; [unrolled: 1-line block ×4, first 2 shown]
	v_fmac_f32_e32 v110, -0.5, v63
	v_sub_f32_e32 v63, v122, v112
	v_fmac_f32_e32 v116, 0x3f5db3d7, v124
	v_mov_b32_e32 v112, v110
	v_fmac_f32_e32 v110, 0x3f5db3d7, v63
	v_fmac_f32_e32 v112, 0xbf5db3d7, v63
	ds_write2_b64 v96, v[115:116], v[113:114] offset0:108 offset1:117
	ds_write_b64 v96, v[117:118] offset:288
	ds_write2_b64 v96, v[61:62], v[111:112] offset0:72 offset1:81
	ds_write_b64 v96, v[109:110] offset:1008
	s_waitcnt lgkmcnt(0)
	s_barrier
	global_load_dwordx2 v[109:110], v60, s[8:9] offset:1080
	global_load_dwordx2 v[113:114], v60, s[6:7] offset:72
	;; [unrolled: 1-line block ×15, first 2 shown]
	ds_read2_b64 v[60:63], v96 offset1:9
	s_waitcnt vmcnt(14) lgkmcnt(0)
	v_mul_f32_e32 v111, v61, v110
	v_mul_f32_e32 v142, v60, v110
	v_fma_f32 v141, v60, v109, -v111
	v_fmac_f32_e32 v142, v61, v109
	ds_read2_b64 v[109:112], v96 offset0:54 offset1:63
	s_waitcnt vmcnt(13)
	v_mul_f32_e32 v60, v63, v114
	v_fma_f32 v143, v62, v113, -v60
	v_mul_f32_e32 v144, v62, v114
	v_fmac_f32_e32 v144, v63, v113
	s_waitcnt vmcnt(12) lgkmcnt(0)
	v_mul_f32_e32 v60, v110, v116
	v_fma_f32 v113, v109, v115, -v60
	ds_read2_b64 v[60:63], v96 offset0:108 offset1:117
	v_mul_f32_e32 v114, v109, v116
	s_waitcnt vmcnt(11)
	v_mul_f32_e32 v109, v112, v118
	v_fmac_f32_e32 v114, v110, v115
	v_fma_f32 v115, v111, v117, -v109
	v_mul_f32_e32 v116, v111, v118
	s_waitcnt vmcnt(10) lgkmcnt(0)
	v_mul_f32_e32 v109, v61, v120
	v_fmac_f32_e32 v116, v112, v117
	v_fma_f32 v117, v60, v119, -v109
	ds_read2_b64 v[109:112], v96 offset0:18 offset1:27
	v_mul_f32_e32 v118, v60, v120
	s_waitcnt vmcnt(9)
	v_mul_f32_e32 v60, v63, v122
	v_fmac_f32_e32 v118, v61, v119
	v_fma_f32 v119, v62, v121, -v60
	v_mul_f32_e32 v120, v62, v122
	s_waitcnt vmcnt(8) lgkmcnt(0)
	v_mul_f32_e32 v60, v112, v124
	v_fmac_f32_e32 v120, v63, v121
	v_fma_f32 v121, v111, v123, -v60
	ds_read2_b64 v[60:63], v96 offset0:36 offset1:45
	v_mul_f32_e32 v122, v111, v124
	s_waitcnt vmcnt(7)
	v_mul_f32_e32 v111, v110, v126
	v_fmac_f32_e32 v122, v112, v123
	v_fma_f32 v123, v109, v125, -v111
	v_mul_f32_e32 v124, v109, v126
	s_waitcnt vmcnt(6) lgkmcnt(0)
	v_mul_f32_e32 v109, v61, v128
	v_fmac_f32_e32 v124, v110, v125
	v_fma_f32 v125, v60, v127, -v109
	ds_read2_b64 v[109:112], v96 offset0:72 offset1:81
	v_mul_f32_e32 v126, v60, v128
	s_waitcnt vmcnt(4)
	v_mul_f32_e32 v60, v63, v132
	v_fmac_f32_e32 v126, v61, v127
	v_fma_f32 v127, v62, v131, -v60
	v_mul_f32_e32 v128, v62, v132
	s_waitcnt vmcnt(3) lgkmcnt(0)
	v_mul_f32_e32 v60, v112, v134
	v_fmac_f32_e32 v128, v63, v131
	v_fma_f32 v131, v111, v133, -v60
	v_mul_f32_e32 v60, v110, v130
	v_mul_f32_e32 v132, v111, v134
	v_fma_f32 v111, v109, v129, -v60
	ds_read2_b64 v[60:63], v96 offset0:90 offset1:99
	v_fmac_f32_e32 v132, v112, v133
	v_mul_f32_e32 v112, v109, v130
	v_fmac_f32_e32 v112, v110, v129
	ds_write2_b64 v96, v[141:142], v[143:144] offset1:9
	ds_write2_b64 v96, v[113:114], v[115:116] offset0:54 offset1:63
	ds_write2_b64 v96, v[117:118], v[119:120] offset0:108 offset1:117
	;; [unrolled: 1-line block ×3, first 2 shown]
	s_waitcnt vmcnt(2) lgkmcnt(4)
	v_mul_f32_e32 v109, v61, v136
	v_mul_f32_e32 v110, v60, v136
	ds_write2_b64 v96, v[125:126], v[127:128] offset0:36 offset1:45
	ds_write2_b64 v96, v[111:112], v[131:132] offset0:72 offset1:81
	v_fma_f32 v109, v60, v135, -v109
	v_fmac_f32_e32 v110, v61, v135
	ds_read_b64 v[60:61], v96 offset:1008
	s_waitcnt vmcnt(1)
	v_mul_f32_e32 v111, v63, v138
	v_mul_f32_e32 v112, v62, v138
	v_fma_f32 v111, v62, v137, -v111
	v_fmac_f32_e32 v112, v63, v137
	s_waitcnt vmcnt(0) lgkmcnt(0)
	v_mul_f32_e32 v62, v61, v140
	v_mul_f32_e32 v63, v60, v140
	v_fma_f32 v62, v60, v139, -v62
	v_fmac_f32_e32 v63, v61, v139
	ds_write2_b64 v96, v[109:110], v[111:112] offset0:90 offset1:99
	ds_write_b64 v96, v[62:63] offset:1008
	s_waitcnt lgkmcnt(0)
	s_barrier
	ds_read2_b64 v[60:63], v96 offset0:18 offset1:27
	ds_read2_b64 v[109:112], v96 offset0:54 offset1:63
	ds_read2_b64 v[113:116], v96 offset0:72 offset1:81
	ds_read2_b64 v[117:120], v96 offset0:108 offset1:117
	ds_read2_b64 v[121:124], v96 offset1:9
	s_waitcnt lgkmcnt(3)
	v_sub_f32_e32 v125, v62, v109
	s_waitcnt lgkmcnt(2)
	v_sub_f32_e32 v146, v109, v115
	;; [unrolled: 2-line block ×3, first 2 shown]
	v_add_f32_e32 v141, v125, v126
	s_waitcnt lgkmcnt(0)
	v_add_f32_e32 v125, v121, v62
	v_add_f32_e32 v125, v125, v109
	;; [unrolled: 1-line block ×5, first 2 shown]
	v_sub_f32_e32 v145, v62, v117
	v_sub_f32_e32 v109, v109, v62
	v_add_f32_e32 v62, v62, v117
	v_fma_f32 v135, -0.5, v125, v121
	v_fma_f32 v121, -0.5, v62, v121
	v_add_f32_e32 v126, v122, v63
	v_sub_f32_e32 v144, v110, v116
	v_mov_b32_e32 v62, v121
	v_add_f32_e32 v126, v126, v110
	v_sub_f32_e32 v143, v63, v118
	v_sub_f32_e32 v115, v115, v117
	v_fmac_f32_e32 v62, 0x3f737871, v144
	v_fmac_f32_e32 v121, 0xbf737871, v144
	v_add_f32_e32 v126, v126, v116
	v_add_f32_e32 v125, v110, v116
	;; [unrolled: 1-line block ×3, first 2 shown]
	v_fmac_f32_e32 v62, 0xbf167918, v143
	v_fmac_f32_e32 v121, 0x3f167918, v143
	v_add_f32_e32 v134, v126, v118
	v_fma_f32 v136, -0.5, v125, v122
	v_sub_f32_e32 v125, v63, v110
	v_sub_f32_e32 v126, v118, v116
	v_fmac_f32_e32 v62, 0x3e9e377a, v109
	v_fmac_f32_e32 v121, 0x3e9e377a, v109
	v_add_f32_e32 v109, v63, v118
	v_add_f32_e32 v142, v125, v126
	ds_read_b64 v[139:140], v96 offset:1008
	ds_read2_b64 v[125:128], v96 offset0:36 offset1:45
	ds_read2_b64 v[129:132], v96 offset0:90 offset1:99
	v_fma_f32 v122, -0.5, v109, v122
	v_sub_f32_e32 v63, v110, v63
	v_sub_f32_e32 v109, v116, v118
	v_add_f32_e32 v109, v63, v109
	v_mov_b32_e32 v63, v122
	v_mov_b32_e32 v137, v135
	;; [unrolled: 1-line block ×3, first 2 shown]
	v_fmac_f32_e32 v63, 0xbf737871, v146
	v_fmac_f32_e32 v122, 0x3f737871, v146
	v_fmac_f32_e32 v137, 0xbf737871, v143
	v_fmac_f32_e32 v138, 0x3f737871, v145
	v_fmac_f32_e32 v63, 0x3f167918, v145
	v_fmac_f32_e32 v122, 0xbf167918, v145
	v_fmac_f32_e32 v135, 0x3f737871, v143
	v_fmac_f32_e32 v136, 0xbf737871, v145
	v_fmac_f32_e32 v137, 0xbf167918, v144
	v_fmac_f32_e32 v138, 0x3f167918, v146
	v_fmac_f32_e32 v63, 0x3e9e377a, v109
	v_fmac_f32_e32 v122, 0x3e9e377a, v109
	v_fmac_f32_e32 v135, 0x3f167918, v144
	v_fmac_f32_e32 v136, 0xbf167918, v146
	v_fmac_f32_e32 v137, 0x3e9e377a, v141
	v_fmac_f32_e32 v138, 0x3e9e377a, v142
	s_waitcnt lgkmcnt(0)
	s_barrier
	ds_write2_b64 v105, v[62:63], v[121:122] offset0:2 offset1:3
	v_fmac_f32_e32 v135, 0x3e9e377a, v141
	v_fmac_f32_e32 v136, 0x3e9e377a, v142
	v_add_f32_e32 v62, v111, v129
	v_add_f32_e32 v63, v125, v119
	ds_write2_b64 v105, v[133:134], v[137:138] offset1:1
	ds_write_b64 v105, v[135:136] offset:32
	v_add_f32_e32 v105, v123, v125
	v_fma_f32 v62, -0.5, v62, v123
	v_fma_f32 v123, -0.5, v63, v123
	v_sub_f32_e32 v63, v111, v125
	v_sub_f32_e32 v109, v129, v119
	v_add_f32_e32 v63, v63, v109
	v_sub_f32_e32 v115, v112, v130
	v_mov_b32_e32 v109, v123
	v_fmac_f32_e32 v109, 0x3f737871, v115
	v_sub_f32_e32 v116, v126, v120
	v_fmac_f32_e32 v123, 0xbf737871, v115
	v_fmac_f32_e32 v109, 0xbf167918, v116
	;; [unrolled: 1-line block ×5, first 2 shown]
	v_add_f32_e32 v63, v112, v130
	v_add_f32_e32 v110, v126, v120
	v_fma_f32 v63, -0.5, v63, v124
	v_add_f32_e32 v117, v124, v126
	v_fmac_f32_e32 v124, -0.5, v110
	v_sub_f32_e32 v110, v112, v126
	v_sub_f32_e32 v118, v130, v120
	v_add_f32_e32 v118, v110, v118
	v_mov_b32_e32 v110, v124
	v_sub_f32_e32 v121, v111, v129
	v_fmac_f32_e32 v110, 0xbf737871, v121
	v_sub_f32_e32 v122, v125, v119
	v_fmac_f32_e32 v124, 0x3f737871, v121
	v_fmac_f32_e32 v110, 0x3f167918, v122
	;; [unrolled: 1-line block ×5, first 2 shown]
	v_add_f32_e32 v105, v105, v111
	ds_write2_b64 v104, v[109:110], v[123:124] offset0:2 offset1:3
	v_add_f32_e32 v109, v117, v112
	v_add_f32_e32 v105, v105, v129
	v_sub_f32_e32 v111, v125, v111
	v_sub_f32_e32 v112, v126, v112
	v_add_f32_e32 v110, v109, v130
	v_add_f32_e32 v109, v105, v119
	v_sub_f32_e32 v105, v119, v129
	v_sub_f32_e32 v117, v120, v130
	v_add_f32_e32 v105, v111, v105
	v_add_f32_e32 v117, v112, v117
	v_mov_b32_e32 v111, v62
	v_mov_b32_e32 v112, v63
	v_fmac_f32_e32 v111, 0xbf737871, v116
	v_fmac_f32_e32 v112, 0x3f737871, v122
	v_fmac_f32_e32 v111, 0xbf167918, v115
	v_fmac_f32_e32 v112, 0x3f167918, v121
	v_add_f32_e32 v110, v110, v120
	v_fmac_f32_e32 v111, 0x3e9e377a, v105
	v_fmac_f32_e32 v112, 0x3e9e377a, v117
	ds_write2_b64 v104, v[109:110], v[111:112] offset1:1
	v_add_f32_e32 v109, v60, v127
	v_add_f32_e32 v111, v113, v131
	v_fmac_f32_e32 v62, 0x3f737871, v116
	v_add_f32_e32 v109, v109, v113
	v_add_f32_e32 v110, v61, v128
	v_sub_f32_e32 v118, v127, v113
	v_sub_f32_e32 v119, v113, v127
	;; [unrolled: 1-line block ×3, first 2 shown]
	v_add_f32_e32 v126, v127, v139
	v_sub_f32_e32 v113, v139, v131
	v_fmac_f32_e32 v62, 0x3f167918, v115
	v_fma_f32 v111, -0.5, v111, v60
	v_add_f32_e32 v110, v110, v114
	v_sub_f32_e32 v112, v114, v132
	v_add_f32_e32 v120, v114, v132
	v_sub_f32_e32 v124, v128, v114
	v_sub_f32_e32 v125, v114, v128
	;; [unrolled: 1-line block ×3, first 2 shown]
	v_fmac_f32_e32 v62, 0x3e9e377a, v105
	v_add_f32_e32 v105, v118, v113
	v_mov_b32_e32 v113, v111
	v_fma_f32 v60, -0.5, v126, v60
	v_fmac_f32_e32 v113, 0xbf737871, v114
	v_fmac_f32_e32 v111, 0x3f737871, v114
	v_mov_b32_e32 v115, v60
	v_add_f32_e32 v128, v128, v140
	v_fmac_f32_e32 v113, 0xbf167918, v112
	v_fmac_f32_e32 v111, 0x3f167918, v112
	;; [unrolled: 1-line block ×4, first 2 shown]
	v_fma_f32 v112, -0.5, v120, v61
	v_sub_f32_e32 v127, v127, v139
	v_sub_f32_e32 v129, v131, v139
	v_fmac_f32_e32 v115, 0xbf167918, v114
	v_fmac_f32_e32 v60, 0x3f167918, v114
	v_mov_b32_e32 v114, v112
	v_fmac_f32_e32 v61, -0.5, v128
	v_sub_f32_e32 v130, v140, v132
	v_fmac_f32_e32 v113, 0x3e9e377a, v105
	v_fmac_f32_e32 v111, 0x3e9e377a, v105
	v_add_f32_e32 v105, v119, v129
	v_fmac_f32_e32 v114, 0x3f737871, v127
	v_fmac_f32_e32 v112, 0xbf737871, v127
	v_mov_b32_e32 v116, v61
	v_add_f32_e32 v109, v109, v131
	v_sub_f32_e32 v131, v132, v140
	v_fmac_f32_e32 v63, 0xbf737871, v122
	v_fmac_f32_e32 v115, 0x3e9e377a, v105
	;; [unrolled: 1-line block ×3, first 2 shown]
	v_add_f32_e32 v105, v124, v130
	v_fmac_f32_e32 v114, 0x3f167918, v123
	v_fmac_f32_e32 v112, 0xbf167918, v123
	;; [unrolled: 1-line block ×4, first 2 shown]
	v_add_f32_e32 v110, v110, v132
	v_fmac_f32_e32 v63, 0xbf167918, v121
	v_fmac_f32_e32 v114, 0x3e9e377a, v105
	;; [unrolled: 1-line block ×3, first 2 shown]
	v_add_f32_e32 v105, v125, v131
	v_fmac_f32_e32 v116, 0x3f167918, v127
	v_fmac_f32_e32 v61, 0xbf167918, v127
	v_add_f32_e32 v109, v109, v139
	v_add_f32_e32 v110, v110, v140
	v_fmac_f32_e32 v63, 0x3e9e377a, v117
	v_fmac_f32_e32 v116, 0x3e9e377a, v105
	;; [unrolled: 1-line block ×3, first 2 shown]
	ds_write_b64 v104, v[62:63] offset:32
	ds_write2_b64 v103, v[109:110], v[113:114] offset1:1
	ds_write2_b64 v103, v[115:116], v[60:61] offset0:2 offset1:3
	ds_write_b64 v103, v[111:112] offset:32
	s_waitcnt lgkmcnt(0)
	s_barrier
	ds_read2_b64 v[60:63], v96 offset0:36 offset1:45
	ds_read2_b64 v[109:112], v96 offset1:9
	ds_read2_b64 v[113:116], v96 offset0:90 offset1:99
	ds_read2_b64 v[117:120], v96 offset0:54 offset1:63
	s_waitcnt lgkmcnt(3)
	v_mul_f32_e32 v103, v33, v63
	v_mul_f32_e32 v33, v33, v62
	v_fmac_f32_e32 v103, v32, v62
	v_fma_f32 v62, v32, v63, -v33
	s_waitcnt lgkmcnt(1)
	v_mul_f32_e32 v32, v35, v113
	v_mul_f32_e32 v63, v35, v114
	v_fma_f32 v104, v34, v114, -v32
	v_mul_f32_e32 v105, v19, v116
	s_waitcnt lgkmcnt(0)
	v_mul_f32_e32 v114, v17, v118
	v_mul_f32_e32 v17, v17, v117
	v_fmac_f32_e32 v105, v18, v115
	v_mul_f32_e32 v19, v19, v115
	v_fmac_f32_e32 v114, v16, v117
	v_fma_f32 v115, v16, v118, -v17
	v_mul_f32_e32 v16, v25, v119
	v_fmac_f32_e32 v63, v34, v113
	v_fma_f32 v113, v18, v116, -v19
	v_fma_f32 v117, v24, v120, -v16
	ds_read2_b64 v[16:19], v96 offset0:72 offset1:81
	ds_read2_b64 v[32:35], v96 offset0:108 offset1:117
	v_mul_f32_e32 v116, v25, v120
	v_fmac_f32_e32 v116, v24, v119
	s_waitcnt lgkmcnt(1)
	v_mul_f32_e32 v122, v29, v17
	v_fmac_f32_e32 v122, v28, v16
	v_mul_f32_e32 v16, v29, v16
	v_fma_f32 v123, v28, v17, -v16
	ds_read_b64 v[16:17], v96 offset:1008
	v_mul_f32_e32 v124, v37, v19
	v_fmac_f32_e32 v124, v36, v18
	v_mul_f32_e32 v18, v37, v18
	s_waitcnt lgkmcnt(1)
	v_mul_f32_e32 v24, v27, v32
	s_waitcnt lgkmcnt(0)
	v_mul_f32_e32 v126, v39, v17
	v_fmac_f32_e32 v126, v38, v16
	v_mul_f32_e32 v16, v39, v16
	v_fma_f32 v16, v38, v17, -v16
	v_add_f32_e32 v17, v109, v103
	v_fma_f32 v125, v36, v19, -v18
	v_add_f32_e32 v18, v17, v63
	v_add_f32_e32 v17, v103, v63
	v_fma_f32 v119, v26, v33, -v24
	v_mul_f32_e32 v120, v31, v35
	v_mul_f32_e32 v24, v31, v34
	v_fma_f32 v28, -0.5, v17, v109
	v_fmac_f32_e32 v120, v30, v34
	v_fma_f32 v121, v30, v35, -v24
	v_sub_f32_e32 v17, v62, v104
	v_mov_b32_e32 v30, v28
	v_fmac_f32_e32 v30, 0xbf5db3d7, v17
	v_fmac_f32_e32 v28, 0x3f5db3d7, v17
	v_add_f32_e32 v17, v110, v62
	v_add_f32_e32 v19, v17, v104
	;; [unrolled: 1-line block ×3, first 2 shown]
	v_fma_f32 v29, -0.5, v17, v110
	v_sub_f32_e32 v17, v103, v63
	v_mov_b32_e32 v31, v29
	v_mul_f32_e32 v118, v27, v33
	v_fmac_f32_e32 v31, 0x3f5db3d7, v17
	v_fmac_f32_e32 v29, 0xbf5db3d7, v17
	v_add_f32_e32 v17, v111, v114
	v_fmac_f32_e32 v118, v26, v32
	v_add_f32_e32 v32, v17, v105
	v_add_f32_e32 v17, v114, v105
	v_fma_f32 v111, -0.5, v17, v111
	ds_read2_b64 v[24:27], v96 offset0:18 offset1:27
	v_sub_f32_e32 v17, v115, v113
	v_mov_b32_e32 v34, v111
	v_fmac_f32_e32 v34, 0xbf5db3d7, v17
	v_fmac_f32_e32 v111, 0x3f5db3d7, v17
	v_add_f32_e32 v17, v112, v115
	v_add_f32_e32 v33, v17, v113
	;; [unrolled: 1-line block ×3, first 2 shown]
	v_fmac_f32_e32 v112, -0.5, v17
	v_sub_f32_e32 v17, v114, v105
	v_mov_b32_e32 v35, v112
	v_fmac_f32_e32 v35, 0x3f5db3d7, v17
	v_fmac_f32_e32 v112, 0xbf5db3d7, v17
	s_waitcnt lgkmcnt(0)
	v_add_f32_e32 v17, v24, v116
	v_add_f32_e32 v36, v17, v118
	v_add_f32_e32 v17, v116, v118
	v_fma_f32 v24, -0.5, v17, v24
	v_sub_f32_e32 v17, v117, v119
	v_mov_b32_e32 v38, v24
	v_fmac_f32_e32 v38, 0xbf5db3d7, v17
	v_fmac_f32_e32 v24, 0x3f5db3d7, v17
	v_add_f32_e32 v17, v25, v117
	v_add_f32_e32 v37, v17, v119
	v_add_f32_e32 v17, v117, v119
	v_fma_f32 v25, -0.5, v17, v25
	v_sub_f32_e32 v17, v116, v118
	v_mov_b32_e32 v39, v25
	v_fmac_f32_e32 v39, 0x3f5db3d7, v17
	v_fmac_f32_e32 v25, 0xbf5db3d7, v17
	;; [unrolled: 8-line block ×3, first 2 shown]
	v_add_f32_e32 v17, v27, v123
	v_add_f32_e32 v63, v17, v121
	;; [unrolled: 1-line block ×3, first 2 shown]
	v_fmac_f32_e32 v27, -0.5, v17
	v_sub_f32_e32 v17, v122, v120
	v_mov_b32_e32 v104, v27
	v_fmac_f32_e32 v104, 0x3f5db3d7, v17
	v_fmac_f32_e32 v27, 0xbf5db3d7, v17
	v_add_f32_e32 v17, v60, v124
	v_add_f32_e32 v109, v17, v126
	;; [unrolled: 1-line block ×3, first 2 shown]
	v_fma_f32 v60, -0.5, v17, v60
	v_sub_f32_e32 v17, v125, v16
	v_mov_b32_e32 v113, v60
	v_add_f32_e32 v105, v125, v16
	v_fmac_f32_e32 v113, 0xbf5db3d7, v17
	v_fmac_f32_e32 v60, 0x3f5db3d7, v17
	v_add_f32_e32 v17, v61, v125
	v_fmac_f32_e32 v61, -0.5, v105
	v_sub_f32_e32 v105, v124, v126
	v_mov_b32_e32 v114, v61
	v_fmac_f32_e32 v61, 0xbf5db3d7, v105
	v_add_f32_e32 v110, v17, v16
	v_fmac_f32_e32 v114, 0x3f5db3d7, v105
	s_barrier
	ds_write2_b64 v98, v[18:19], v[30:31] offset1:5
	ds_write_b64 v98, v[28:29] offset:80
	ds_write2_b64 v99, v[32:33], v[34:35] offset1:5
	ds_write_b64 v99, v[111:112] offset:80
	;; [unrolled: 2-line block ×5, first 2 shown]
	s_waitcnt lgkmcnt(0)
	s_barrier
	ds_read2_b64 v[24:27], v96 offset1:9
	ds_read2_b64 v[28:31], v96 offset0:36 offset1:45
	ds_read2_b64 v[32:35], v96 offset0:90 offset1:99
	;; [unrolled: 1-line block ×6, first 2 shown]
	ds_read_b64 v[18:19], v96 offset:1008
	s_waitcnt lgkmcnt(6)
	v_mul_f32_e32 v109, v1, v31
	v_mul_f32_e32 v1, v1, v30
	v_fmac_f32_e32 v109, v0, v30
	v_fma_f32 v30, v0, v31, -v1
	s_waitcnt lgkmcnt(5)
	v_mul_f32_e32 v31, v3, v33
	v_mul_f32_e32 v0, v3, v32
	v_fmac_f32_e32 v31, v2, v32
	v_fma_f32 v3, v2, v33, -v0
	;; [unrolled: 5-line block ×3, first 2 shown]
	v_mul_f32_e32 v36, v7, v35
	v_mul_f32_e32 v0, v7, v34
	v_fmac_f32_e32 v36, v6, v34
	v_fma_f32 v34, v6, v35, -v0
	v_mul_f32_e32 v35, v9, v39
	v_mul_f32_e32 v0, v9, v38
	v_fmac_f32_e32 v35, v8, v38
	v_fma_f32 v37, v8, v39, -v0
	s_waitcnt lgkmcnt(2)
	v_mul_f32_e32 v38, v11, v99
	v_mul_f32_e32 v0, v11, v98
	v_fmac_f32_e32 v38, v10, v98
	v_fma_f32 v39, v10, v99, -v0
	s_waitcnt lgkmcnt(1)
	v_mul_f32_e32 v98, v13, v103
	v_mul_f32_e32 v0, v13, v102
	v_fmac_f32_e32 v98, v12, v102
	v_fma_f32 v99, v12, v103, -v0
	v_mul_f32_e32 v102, v15, v101
	v_mul_f32_e32 v0, v15, v100
	v_add_f32_e32 v1, v109, v31
	v_fmac_f32_e32 v102, v14, v100
	v_fma_f32 v100, v14, v101, -v0
	v_mul_f32_e32 v101, v21, v105
	v_mul_f32_e32 v0, v21, v104
	v_fma_f32 v2, -0.5, v1, v24
	v_add_f32_e32 v13, v37, v39
	v_fmac_f32_e32 v101, v20, v104
	v_fma_f32 v103, v20, v105, -v0
	s_waitcnt lgkmcnt(0)
	v_mul_f32_e32 v104, v23, v19
	v_mul_f32_e32 v0, v23, v18
	v_sub_f32_e32 v1, v30, v3
	v_mov_b32_e32 v4, v2
	v_fma_f32 v13, -0.5, v13, v61
	v_fmac_f32_e32 v104, v22, v18
	v_fma_f32 v105, v22, v19, -v0
	v_fmac_f32_e32 v4, 0xbf5db3d7, v1
	v_fmac_f32_e32 v2, 0x3f5db3d7, v1
	v_add_f32_e32 v1, v25, v30
	v_sub_f32_e32 v18, v35, v38
	v_mov_b32_e32 v15, v13
	v_add_f32_e32 v19, v98, v102
	v_add_f32_e32 v1, v1, v3
	;; [unrolled: 1-line block ×3, first 2 shown]
	v_fmac_f32_e32 v15, 0x3f5db3d7, v18
	v_fmac_f32_e32 v13, 0xbf5db3d7, v18
	v_add_f32_e32 v18, v62, v98
	v_fma_f32 v62, -0.5, v19, v62
	v_fma_f32 v3, -0.5, v3, v25
	v_sub_f32_e32 v19, v99, v100
	v_mov_b32_e32 v20, v62
	v_add_f32_e32 v21, v99, v100
	v_sub_f32_e32 v6, v109, v31
	v_mov_b32_e32 v5, v3
	v_add_f32_e32 v7, v32, v36
	v_fmac_f32_e32 v20, 0xbf5db3d7, v19
	v_fmac_f32_e32 v62, 0x3f5db3d7, v19
	v_add_f32_e32 v19, v63, v99
	v_fmac_f32_e32 v63, -0.5, v21
	v_fmac_f32_e32 v5, 0x3f5db3d7, v6
	v_fmac_f32_e32 v3, 0xbf5db3d7, v6
	v_add_f32_e32 v6, v26, v32
	v_fma_f32 v26, -0.5, v7, v26
	v_sub_f32_e32 v22, v98, v102
	v_mov_b32_e32 v21, v63
	v_add_f32_e32 v23, v101, v104
	v_sub_f32_e32 v7, v33, v34
	v_mov_b32_e32 v8, v26
	v_add_f32_e32 v9, v33, v34
	v_add_f32_e32 v11, v35, v38
	v_fmac_f32_e32 v21, 0x3f5db3d7, v22
	v_fmac_f32_e32 v63, 0xbf5db3d7, v22
	v_add_f32_e32 v22, v28, v101
	v_fma_f32 v28, -0.5, v23, v28
	v_add_f32_e32 v0, v24, v109
	v_fmac_f32_e32 v8, 0xbf5db3d7, v7
	v_fmac_f32_e32 v26, 0x3f5db3d7, v7
	v_add_f32_e32 v7, v27, v33
	v_fmac_f32_e32 v27, -0.5, v9
	v_fma_f32 v12, -0.5, v11, v60
	v_sub_f32_e32 v23, v103, v105
	v_mov_b32_e32 v24, v28
	v_add_f32_e32 v25, v103, v105
	v_sub_f32_e32 v10, v32, v36
	v_mov_b32_e32 v9, v27
	v_sub_f32_e32 v11, v37, v39
	v_mov_b32_e32 v14, v12
	v_fmac_f32_e32 v24, 0xbf5db3d7, v23
	v_fmac_f32_e32 v28, 0x3f5db3d7, v23
	v_add_f32_e32 v23, v29, v103
	v_fmac_f32_e32 v29, -0.5, v25
	v_fmac_f32_e32 v9, 0x3f5db3d7, v10
	v_fmac_f32_e32 v27, 0xbf5db3d7, v10
	v_add_f32_e32 v10, v60, v35
	v_fmac_f32_e32 v14, 0xbf5db3d7, v11
	v_fmac_f32_e32 v12, 0x3f5db3d7, v11
	v_add_f32_e32 v11, v61, v37
	v_sub_f32_e32 v30, v101, v104
	v_mov_b32_e32 v25, v29
	v_add_f32_e32 v0, v0, v31
	v_add_f32_e32 v6, v6, v36
	;; [unrolled: 1-line block ×9, first 2 shown]
	v_fmac_f32_e32 v25, 0x3f5db3d7, v30
	v_fmac_f32_e32 v29, 0xbf5db3d7, v30
	s_barrier
	ds_write2_b64 v96, v[0:1], v[4:5] offset1:15
	ds_write_b64 v96, v[2:3] offset:240
	ds_write2_b64 v106, v[6:7], v[8:9] offset1:15
	ds_write_b64 v106, v[26:27] offset:240
	ds_write2_b64 v96, v[10:11], v[14:15] offset0:48 offset1:63
	ds_write_b64 v96, v[12:13] offset:624
	ds_write2_b64 v107, v[18:19], v[20:21] offset1:15
	ds_write_b64 v107, v[62:63] offset:240
	ds_write2_b64 v108, v[22:23], v[24:25] offset0:90 offset1:105
	ds_write_b64 v108, v[28:29] offset:960
	s_waitcnt lgkmcnt(0)
	s_barrier
	ds_read2_b64 v[0:3], v96 offset1:9
	ds_read2_b64 v[4:7], v96 offset0:36 offset1:45
	ds_read2_b64 v[8:11], v96 offset0:90 offset1:99
	ds_read2_b64 v[12:15], v96 offset0:54 offset1:63
	ds_read2_b64 v[18:21], v96 offset0:18 offset1:27
	ds_read2_b64 v[22:25], v96 offset0:108 offset1:117
	ds_read2_b64 v[26:29], v96 offset0:72 offset1:81
	ds_read_b64 v[30:31], v96 offset:1008
	s_waitcnt lgkmcnt(6)
	v_mul_f32_e32 v32, v45, v7
	v_fmac_f32_e32 v32, v44, v6
	v_mul_f32_e32 v6, v45, v6
	v_fma_f32 v33, v44, v7, -v6
	s_waitcnt lgkmcnt(5)
	v_mul_f32_e32 v6, v47, v8
	v_mul_f32_e32 v34, v47, v9
	v_fma_f32 v9, v46, v9, -v6
	s_waitcnt lgkmcnt(4)
	v_mul_f32_e32 v6, v49, v12
	v_mul_f32_e32 v35, v49, v13
	v_fma_f32 v13, v48, v13, -v6
	v_mul_f32_e32 v6, v51, v10
	v_fma_f32 v37, v50, v11, -v6
	;; [unrolled: 2-line block ×3, first 2 shown]
	s_waitcnt lgkmcnt(2)
	v_mul_f32_e32 v6, v55, v22
	v_mul_f32_e32 v44, v55, v23
	v_fma_f32 v23, v54, v23, -v6
	s_waitcnt lgkmcnt(1)
	v_mul_f32_e32 v6, v41, v26
	v_mul_f32_e32 v45, v41, v27
	v_fma_f32 v27, v40, v27, -v6
	v_mul_f32_e32 v6, v43, v24
	v_fmac_f32_e32 v34, v46, v8
	v_fma_f32 v41, v42, v25, -v6
	v_mul_f32_e32 v6, v57, v28
	v_fmac_f32_e32 v45, v40, v26
	v_mul_f32_e32 v40, v43, v25
	v_fma_f32 v43, v56, v29, -v6
	s_waitcnt lgkmcnt(0)
	v_mul_f32_e32 v6, v59, v30
	v_add_f32_e32 v7, v32, v34
	v_mul_f32_e32 v46, v59, v31
	v_fma_f32 v31, v58, v31, -v6
	v_add_f32_e32 v6, v0, v32
	v_fma_f32 v0, -0.5, v7, v0
	v_sub_f32_e32 v7, v33, v9
	v_mov_b32_e32 v8, v0
	v_fmac_f32_e32 v8, 0xbf5db3d7, v7
	v_fmac_f32_e32 v0, 0x3f5db3d7, v7
	v_add_f32_e32 v7, v1, v33
	v_mul_f32_e32 v36, v51, v11
	v_add_f32_e32 v7, v7, v9
	v_add_f32_e32 v9, v33, v9
	v_fmac_f32_e32 v35, v48, v12
	v_fmac_f32_e32 v36, v50, v10
	v_fma_f32 v1, -0.5, v9, v1
	v_sub_f32_e32 v10, v32, v34
	v_mov_b32_e32 v9, v1
	v_add_f32_e32 v11, v35, v36
	v_fmac_f32_e32 v9, 0x3f5db3d7, v10
	v_fmac_f32_e32 v1, 0xbf5db3d7, v10
	v_add_f32_e32 v10, v2, v35
	v_fma_f32 v2, -0.5, v11, v2
	v_sub_f32_e32 v11, v13, v37
	v_mov_b32_e32 v12, v2
	v_mul_f32_e32 v38, v53, v15
	v_fmac_f32_e32 v12, 0xbf5db3d7, v11
	v_fmac_f32_e32 v2, 0x3f5db3d7, v11
	v_add_f32_e32 v11, v3, v13
	v_add_f32_e32 v13, v13, v37
	v_fmac_f32_e32 v38, v52, v14
	v_fmac_f32_e32 v44, v54, v22
	v_fmac_f32_e32 v3, -0.5, v13
	v_sub_f32_e32 v14, v35, v36
	v_mov_b32_e32 v13, v3
	v_add_f32_e32 v15, v38, v44
	v_fmac_f32_e32 v13, 0x3f5db3d7, v14
	v_fmac_f32_e32 v3, 0xbf5db3d7, v14
	v_add_f32_e32 v14, v18, v38
	v_fma_f32 v18, -0.5, v15, v18
	v_sub_f32_e32 v15, v39, v23
	v_mov_b32_e32 v22, v18
	v_fmac_f32_e32 v22, 0xbf5db3d7, v15
	v_fmac_f32_e32 v18, 0x3f5db3d7, v15
	v_add_f32_e32 v15, v19, v39
	v_add_f32_e32 v15, v15, v23
	;; [unrolled: 1-line block ×3, first 2 shown]
	v_fmac_f32_e32 v40, v42, v24
	v_fma_f32 v19, -0.5, v23, v19
	v_sub_f32_e32 v24, v38, v44
	v_mov_b32_e32 v23, v19
	v_add_f32_e32 v25, v45, v40
	v_fmac_f32_e32 v23, 0x3f5db3d7, v24
	v_fmac_f32_e32 v19, 0xbf5db3d7, v24
	v_add_f32_e32 v24, v20, v45
	v_fma_f32 v20, -0.5, v25, v20
	v_sub_f32_e32 v25, v27, v41
	v_mov_b32_e32 v26, v20
	v_mul_f32_e32 v42, v57, v29
	v_fmac_f32_e32 v26, 0xbf5db3d7, v25
	v_fmac_f32_e32 v20, 0x3f5db3d7, v25
	v_add_f32_e32 v25, v21, v27
	v_add_f32_e32 v27, v27, v41
	v_fmac_f32_e32 v42, v56, v28
	v_fmac_f32_e32 v46, v58, v30
	v_fmac_f32_e32 v21, -0.5, v27
	v_sub_f32_e32 v28, v45, v40
	v_mov_b32_e32 v27, v21
	v_add_f32_e32 v29, v42, v46
	v_fmac_f32_e32 v27, 0x3f5db3d7, v28
	v_fmac_f32_e32 v21, 0xbf5db3d7, v28
	v_add_f32_e32 v28, v4, v42
	v_fma_f32 v4, -0.5, v29, v4
	v_sub_f32_e32 v29, v43, v31
	v_mov_b32_e32 v30, v4
	v_fmac_f32_e32 v30, 0xbf5db3d7, v29
	v_fmac_f32_e32 v4, 0x3f5db3d7, v29
	v_add_f32_e32 v29, v5, v43
	v_add_f32_e32 v29, v29, v31
	;; [unrolled: 1-line block ×3, first 2 shown]
	v_fmac_f32_e32 v5, -0.5, v31
	v_mad_u64_u32 v[16:17], s[6:7], s2, v82, 0
	v_sub_f32_e32 v32, v42, v46
	v_mov_b32_e32 v31, v5
	v_add_f32_e32 v6, v6, v34
	v_add_f32_e32 v10, v10, v36
	;; [unrolled: 1-line block ×7, first 2 shown]
	v_fmac_f32_e32 v31, 0x3f5db3d7, v32
	v_fmac_f32_e32 v5, 0xbf5db3d7, v32
	ds_write_b64 v96, v[8:9] offset:360
	ds_write_b64 v96, v[0:1] offset:720
	ds_write2_b64 v96, v[6:7], v[10:11] offset1:9
	ds_write_b64 v96, v[2:3] offset:792
	ds_write2_b64 v96, v[12:13], v[22:23] offset0:54 offset1:63
	ds_write2_b64 v96, v[14:15], v[24:25] offset0:18 offset1:27
	;; [unrolled: 1-line block ×3, first 2 shown]
	ds_write_b64 v96, v[28:29] offset:288
	ds_write2_b64 v96, v[26:27], v[30:31] offset0:72 offset1:81
	ds_write_b64 v96, v[4:5] offset:1008
	s_waitcnt lgkmcnt(0)
	s_barrier
	ds_read2_b64 v[0:3], v96 offset1:9
	v_mov_b32_e32 v4, v17
	v_mad_u64_u32 v[4:5], s[2:3], s3, v82, v[4:5]
	s_mov_b32 s2, 0xc901e574
	s_waitcnt lgkmcnt(0)
	v_mul_f32_e32 v5, v94, v1
	v_fmac_f32_e32 v5, v93, v0
	v_cvt_f64_f32_e32 v[5:6], v5
	s_mov_b32 s3, 0x3f7e573a
	v_mul_f32_e32 v0, v94, v0
	v_fma_f32 v0, v93, v1, -v0
	v_mul_f64 v[5:6], v[5:6], s[2:3]
	v_mad_u64_u32 v[8:9], s[6:7], s0, v97, 0
	v_cvt_f64_f32_e32 v[0:1], v0
	v_mov_b32_e32 v17, v4
	v_mov_b32_e32 v4, v9
	;; [unrolled: 1-line block ×3, first 2 shown]
	v_mul_f64 v[0:1], v[0:1], s[2:3]
	v_mad_u64_u32 v[9:10], s[6:7], s1, v97, v[4:5]
	v_cvt_f32_f64_e32 v10, v[5:6]
	ds_read2_b64 v[4:7], v96 offset0:18 offset1:27
	v_lshlrev_b64 v[8:9], 3, v[8:9]
	s_mul_hi_u32 s5, s0, 0xd8
	v_cvt_f32_f64_e32 v11, v[0:1]
	s_waitcnt lgkmcnt(0)
	v_mul_f32_e32 v12, v92, v7
	v_fmac_f32_e32 v12, v91, v6
	v_mul_f32_e32 v6, v92, v6
	v_lshlrev_b64 v[0:1], 3, v[16:17]
	v_fma_f32 v6, v91, v7, -v6
	v_cvt_f64_f32_e32 v[12:13], v12
	v_cvt_f64_f32_e32 v[6:7], v6
	v_add_co_u32_e32 v15, vcc, s4, v0
	v_addc_co_u32_e32 v16, vcc, v14, v1, vcc
	v_add_co_u32_e32 v14, vcc, v15, v8
	v_mul_f64 v[0:1], v[12:13], s[2:3]
	v_mul_f64 v[12:13], v[6:7], s[2:3]
	v_addc_co_u32_e32 v15, vcc, v16, v9, vcc
	ds_read2_b64 v[6:9], v96 offset0:54 offset1:63
	global_store_dwordx2 v[14:15], v[10:11], off
	s_mul_i32 s4, s1, 0xd8
	s_add_i32 s4, s5, s4
	s_mul_i32 s5, s0, 0xd8
	s_waitcnt lgkmcnt(0)
	v_mul_f32_e32 v10, v90, v7
	v_fmac_f32_e32 v10, v89, v6
	v_mul_f32_e32 v6, v90, v6
	v_fma_f32 v6, v89, v7, -v6
	v_cvt_f64_f32_e32 v[6:7], v6
	v_cvt_f64_f32_e32 v[10:11], v10
	v_cvt_f32_f64_e32 v0, v[0:1]
	v_cvt_f32_f64_e32 v1, v[12:13]
	v_mul_f64 v[6:7], v[6:7], s[2:3]
	v_mov_b32_e32 v12, s4
	v_add_co_u32_e32 v18, vcc, s5, v14
	v_mul_f64 v[16:17], v[10:11], s[2:3]
	v_addc_co_u32_e32 v19, vcc, v15, v12, vcc
	ds_read2_b64 v[10:13], v96 offset0:72 offset1:81
	global_store_dwordx2 v[18:19], v[0:1], off
	v_cvt_f32_f64_e32 v1, v[6:7]
	v_mov_b32_e32 v20, s4
	v_add_co_u32_e32 v18, vcc, s5, v18
	s_waitcnt lgkmcnt(0)
	v_mul_f32_e32 v6, v86, v13
	v_fmac_f32_e32 v6, v85, v12
	v_mul_f32_e32 v12, v86, v12
	v_fma_f32 v12, v85, v13, -v12
	v_cvt_f32_f64_e32 v0, v[16:17]
	v_cvt_f64_f32_e32 v[6:7], v6
	v_cvt_f64_f32_e32 v[16:17], v12
	ds_read2_b64 v[12:15], v96 offset0:108 offset1:117
	v_addc_co_u32_e32 v19, vcc, v19, v20, vcc
	global_store_dwordx2 v[18:19], v[0:1], off
	v_mul_f64 v[0:1], v[6:7], s[2:3]
	v_mul_f64 v[6:7], v[16:17], s[2:3]
	s_waitcnt lgkmcnt(0)
	v_mul_f32_e32 v16, v88, v13
	v_fmac_f32_e32 v16, v87, v12
	v_mul_f32_e32 v12, v88, v12
	v_fma_f32 v12, v87, v13, -v12
	v_cvt_f64_f32_e32 v[16:17], v16
	v_cvt_f64_f32_e32 v[12:13], v12
	v_cvt_f32_f64_e32 v0, v[0:1]
	v_cvt_f32_f64_e32 v1, v[6:7]
	v_mul_f64 v[6:7], v[16:17], s[2:3]
	v_mul_f64 v[12:13], v[12:13], s[2:3]
	v_mov_b32_e32 v17, s4
	v_add_co_u32_e32 v16, vcc, s5, v18
	v_addc_co_u32_e32 v17, vcc, v19, v17, vcc
	global_store_dwordx2 v[16:17], v[0:1], off
	v_mul_f32_e32 v0, v84, v3
	v_fmac_f32_e32 v0, v83, v2
	v_cvt_f32_f64_e32 v6, v[6:7]
	v_cvt_f32_f64_e32 v7, v[12:13]
	v_cvt_f64_f32_e32 v[12:13], v0
	v_mul_f32_e32 v0, v84, v2
	v_fma_f32 v0, v83, v3, -v0
	v_cvt_f64_f32_e32 v[18:19], v0
	ds_read2_b64 v[0:3], v96 offset0:36 offset1:45
	v_add_co_u32_e32 v16, vcc, s5, v16
	v_mul_f64 v[12:13], v[12:13], s[2:3]
	v_addc_co_u32_e32 v17, vcc, v17, v20, vcc
	s_waitcnt lgkmcnt(0)
	v_mul_f32_e32 v20, v81, v1
	v_fmac_f32_e32 v20, v80, v0
	v_mul_f32_e32 v0, v81, v0
	v_fma_f32 v0, v80, v1, -v0
	v_mul_f64 v[18:19], v[18:19], s[2:3]
	v_cvt_f64_f32_e32 v[20:21], v20
	v_cvt_f64_f32_e32 v[0:1], v0
	global_store_dwordx2 v[16:17], v[6:7], off
	v_cvt_f32_f64_e32 v6, v[12:13]
	v_mul_f64 v[12:13], v[20:21], s[2:3]
	v_mul_f64 v[0:1], v[0:1], s[2:3]
	v_mad_u64_u32 v[16:17], s[6:7], s0, v95, v[16:17]
	v_cvt_f32_f64_e32 v7, v[18:19]
	s_mulk_i32 s1, 0xfce8
	s_sub_i32 s6, s1, s0
	v_add_u32_e32 v17, s6, v17
	global_store_dwordx2 v[16:17], v[6:7], off
	v_cvt_f32_f64_e32 v12, v[12:13]
	v_cvt_f32_f64_e32 v13, v[0:1]
	v_mul_f32_e32 v0, v77, v9
	v_mul_f32_e32 v6, v77, v8
	v_fmac_f32_e32 v0, v76, v8
	v_fma_f32 v6, v76, v9, -v6
	v_cvt_f64_f32_e32 v[0:1], v0
	v_cvt_f64_f32_e32 v[18:19], v6
	ds_read2_b64 v[6:9], v96 offset0:90 offset1:99
	v_mov_b32_e32 v20, s4
	v_add_co_u32_e32 v16, vcc, s5, v16
	v_addc_co_u32_e32 v17, vcc, v17, v20, vcc
	global_store_dwordx2 v[16:17], v[12:13], off
	v_mul_f64 v[0:1], v[0:1], s[2:3]
	v_mul_f64 v[12:13], v[18:19], s[2:3]
	s_waitcnt lgkmcnt(0)
	v_mul_f32_e32 v18, v79, v7
	v_fmac_f32_e32 v18, v78, v6
	v_mul_f32_e32 v6, v79, v6
	v_fma_f32 v6, v78, v7, -v6
	v_cvt_f64_f32_e32 v[18:19], v18
	v_cvt_f64_f32_e32 v[6:7], v6
	v_cvt_f32_f64_e32 v0, v[0:1]
	v_cvt_f32_f64_e32 v1, v[12:13]
	v_mul_f64 v[12:13], v[18:19], s[2:3]
	v_mul_f64 v[6:7], v[6:7], s[2:3]
	v_mov_b32_e32 v18, s4
	v_add_co_u32_e32 v16, vcc, s5, v16
	v_addc_co_u32_e32 v17, vcc, v17, v18, vcc
	global_store_dwordx2 v[16:17], v[0:1], off
	v_cvt_f32_f64_e32 v0, v[12:13]
	v_cvt_f32_f64_e32 v1, v[6:7]
	v_mul_f32_e32 v6, v75, v15
	v_mul_f32_e32 v12, v75, v14
	v_fmac_f32_e32 v6, v74, v14
	v_fma_f32 v12, v74, v15, -v12
	v_cvt_f64_f32_e32 v[6:7], v6
	v_cvt_f64_f32_e32 v[12:13], v12
	v_add_co_u32_e32 v14, vcc, s5, v16
	v_addc_co_u32_e32 v15, vcc, v17, v18, vcc
	global_store_dwordx2 v[14:15], v[0:1], off
	v_mul_f64 v[0:1], v[6:7], s[2:3]
	v_mul_f64 v[6:7], v[12:13], s[2:3]
	v_mul_f32_e32 v12, v71, v5
	v_fmac_f32_e32 v12, v70, v4
	v_cvt_f64_f32_e32 v[12:13], v12
	v_mul_f32_e32 v4, v71, v4
	v_fma_f32 v4, v70, v5, -v4
	v_cvt_f64_f32_e32 v[4:5], v4
	v_cvt_f32_f64_e32 v0, v[0:1]
	v_cvt_f32_f64_e32 v1, v[6:7]
	v_mul_f64 v[6:7], v[12:13], s[2:3]
	v_mul_f64 v[4:5], v[4:5], s[2:3]
	v_mov_b32_e32 v13, s4
	v_add_co_u32_e32 v12, vcc, s5, v14
	v_addc_co_u32_e32 v13, vcc, v15, v13, vcc
	global_store_dwordx2 v[12:13], v[0:1], off
	v_cvt_f32_f64_e32 v0, v[6:7]
	v_mul_f32_e32 v6, v69, v3
	v_fmac_f32_e32 v6, v68, v2
	v_mul_f32_e32 v2, v69, v2
	v_cvt_f32_f64_e32 v1, v[4:5]
	v_mad_u64_u32 v[4:5], s[0:1], s0, v95, v[12:13]
	v_fma_f32 v2, v68, v3, -v2
	v_cvt_f64_f32_e32 v[6:7], v6
	v_cvt_f64_f32_e32 v[2:3], v2
	v_add_u32_e32 v5, s6, v5
	global_store_dwordx2 v[4:5], v[0:1], off
	v_mul_f64 v[0:1], v[6:7], s[2:3]
	v_mul_f64 v[2:3], v[2:3], s[2:3]
	v_mul_f32_e32 v6, v73, v11
	v_fmac_f32_e32 v6, v72, v10
	v_mul_f32_e32 v10, v73, v10
	v_fma_f32 v10, v72, v11, -v10
	v_cvt_f64_f32_e32 v[6:7], v6
	v_cvt_f64_f32_e32 v[10:11], v10
	v_cvt_f32_f64_e32 v0, v[0:1]
	v_cvt_f32_f64_e32 v1, v[2:3]
	v_mul_f64 v[2:3], v[6:7], s[2:3]
	v_mul_f64 v[6:7], v[10:11], s[2:3]
	v_mov_b32_e32 v10, s4
	v_add_co_u32_e32 v4, vcc, s5, v4
	v_addc_co_u32_e32 v5, vcc, v5, v10, vcc
	global_store_dwordx2 v[4:5], v[0:1], off
	v_cvt_f32_f64_e32 v0, v[2:3]
	v_cvt_f32_f64_e32 v1, v[6:7]
	v_mul_f32_e32 v2, v67, v9
	v_mul_f32_e32 v6, v67, v8
	v_fmac_f32_e32 v2, v66, v8
	v_fma_f32 v6, v66, v9, -v6
	v_cvt_f64_f32_e32 v[2:3], v2
	v_cvt_f64_f32_e32 v[6:7], v6
	ds_read_b64 v[8:9], v96 offset:1008
	v_add_co_u32_e32 v4, vcc, s5, v4
	v_addc_co_u32_e32 v5, vcc, v5, v10, vcc
	global_store_dwordx2 v[4:5], v[0:1], off
	v_mul_f64 v[0:1], v[2:3], s[2:3]
	v_mul_f64 v[2:3], v[6:7], s[2:3]
	s_waitcnt lgkmcnt(0)
	v_mul_f32_e32 v6, v65, v9
	v_fmac_f32_e32 v6, v64, v8
	v_mul_f32_e32 v8, v65, v8
	v_fma_f32 v8, v64, v9, -v8
	v_cvt_f64_f32_e32 v[6:7], v6
	v_cvt_f64_f32_e32 v[8:9], v8
	v_cvt_f32_f64_e32 v0, v[0:1]
	v_cvt_f32_f64_e32 v1, v[2:3]
	v_mul_f64 v[2:3], v[6:7], s[2:3]
	v_mul_f64 v[6:7], v[8:9], s[2:3]
	v_mov_b32_e32 v8, s4
	v_add_co_u32_e32 v4, vcc, s5, v4
	v_addc_co_u32_e32 v5, vcc, v5, v8, vcc
	global_store_dwordx2 v[4:5], v[0:1], off
	v_cvt_f32_f64_e32 v0, v[2:3]
	v_cvt_f32_f64_e32 v1, v[6:7]
	v_mov_b32_e32 v3, s4
	v_add_co_u32_e32 v2, vcc, s5, v4
	v_addc_co_u32_e32 v3, vcc, v5, v3, vcc
	global_store_dwordx2 v[2:3], v[0:1], off
.LBB0_2:
	s_endpgm
	.section	.rodata,"a",@progbits
	.p2align	6, 0x0
	.amdhsa_kernel bluestein_single_back_len135_dim1_sp_op_CI_CI
		.amdhsa_group_segment_fixed_size 15120
		.amdhsa_private_segment_fixed_size 0
		.amdhsa_kernarg_size 104
		.amdhsa_user_sgpr_count 6
		.amdhsa_user_sgpr_private_segment_buffer 1
		.amdhsa_user_sgpr_dispatch_ptr 0
		.amdhsa_user_sgpr_queue_ptr 0
		.amdhsa_user_sgpr_kernarg_segment_ptr 1
		.amdhsa_user_sgpr_dispatch_id 0
		.amdhsa_user_sgpr_flat_scratch_init 0
		.amdhsa_user_sgpr_private_segment_size 0
		.amdhsa_uses_dynamic_stack 0
		.amdhsa_system_sgpr_private_segment_wavefront_offset 0
		.amdhsa_system_sgpr_workgroup_id_x 1
		.amdhsa_system_sgpr_workgroup_id_y 0
		.amdhsa_system_sgpr_workgroup_id_z 0
		.amdhsa_system_sgpr_workgroup_info 0
		.amdhsa_system_vgpr_workitem_id 0
		.amdhsa_next_free_vgpr 147
		.amdhsa_next_free_sgpr 20
		.amdhsa_reserve_vcc 1
		.amdhsa_reserve_flat_scratch 0
		.amdhsa_float_round_mode_32 0
		.amdhsa_float_round_mode_16_64 0
		.amdhsa_float_denorm_mode_32 3
		.amdhsa_float_denorm_mode_16_64 3
		.amdhsa_dx10_clamp 1
		.amdhsa_ieee_mode 1
		.amdhsa_fp16_overflow 0
		.amdhsa_exception_fp_ieee_invalid_op 0
		.amdhsa_exception_fp_denorm_src 0
		.amdhsa_exception_fp_ieee_div_zero 0
		.amdhsa_exception_fp_ieee_overflow 0
		.amdhsa_exception_fp_ieee_underflow 0
		.amdhsa_exception_fp_ieee_inexact 0
		.amdhsa_exception_int_div_zero 0
	.end_amdhsa_kernel
	.text
.Lfunc_end0:
	.size	bluestein_single_back_len135_dim1_sp_op_CI_CI, .Lfunc_end0-bluestein_single_back_len135_dim1_sp_op_CI_CI
                                        ; -- End function
	.section	.AMDGPU.csdata,"",@progbits
; Kernel info:
; codeLenInByte = 10992
; NumSgprs: 24
; NumVgprs: 147
; ScratchSize: 0
; MemoryBound: 0
; FloatMode: 240
; IeeeMode: 1
; LDSByteSize: 15120 bytes/workgroup (compile time only)
; SGPRBlocks: 2
; VGPRBlocks: 36
; NumSGPRsForWavesPerEU: 24
; NumVGPRsForWavesPerEU: 147
; Occupancy: 1
; WaveLimiterHint : 1
; COMPUTE_PGM_RSRC2:SCRATCH_EN: 0
; COMPUTE_PGM_RSRC2:USER_SGPR: 6
; COMPUTE_PGM_RSRC2:TRAP_HANDLER: 0
; COMPUTE_PGM_RSRC2:TGID_X_EN: 1
; COMPUTE_PGM_RSRC2:TGID_Y_EN: 0
; COMPUTE_PGM_RSRC2:TGID_Z_EN: 0
; COMPUTE_PGM_RSRC2:TIDIG_COMP_CNT: 0
	.type	__hip_cuid_57dc20b5b74e269b,@object ; @__hip_cuid_57dc20b5b74e269b
	.section	.bss,"aw",@nobits
	.globl	__hip_cuid_57dc20b5b74e269b
__hip_cuid_57dc20b5b74e269b:
	.byte	0                               ; 0x0
	.size	__hip_cuid_57dc20b5b74e269b, 1

	.ident	"AMD clang version 19.0.0git (https://github.com/RadeonOpenCompute/llvm-project roc-6.4.0 25133 c7fe45cf4b819c5991fe208aaa96edf142730f1d)"
	.section	".note.GNU-stack","",@progbits
	.addrsig
	.addrsig_sym __hip_cuid_57dc20b5b74e269b
	.amdgpu_metadata
---
amdhsa.kernels:
  - .args:
      - .actual_access:  read_only
        .address_space:  global
        .offset:         0
        .size:           8
        .value_kind:     global_buffer
      - .actual_access:  read_only
        .address_space:  global
        .offset:         8
        .size:           8
        .value_kind:     global_buffer
      - .actual_access:  read_only
        .address_space:  global
        .offset:         16
        .size:           8
        .value_kind:     global_buffer
      - .actual_access:  read_only
        .address_space:  global
        .offset:         24
        .size:           8
        .value_kind:     global_buffer
      - .actual_access:  read_only
        .address_space:  global
        .offset:         32
        .size:           8
        .value_kind:     global_buffer
      - .offset:         40
        .size:           8
        .value_kind:     by_value
      - .address_space:  global
        .offset:         48
        .size:           8
        .value_kind:     global_buffer
      - .address_space:  global
        .offset:         56
        .size:           8
        .value_kind:     global_buffer
      - .address_space:  global
        .offset:         64
        .size:           8
        .value_kind:     global_buffer
      - .address_space:  global
        .offset:         72
        .size:           8
        .value_kind:     global_buffer
      - .offset:         80
        .size:           4
        .value_kind:     by_value
      - .address_space:  global
        .offset:         88
        .size:           8
        .value_kind:     global_buffer
      - .address_space:  global
        .offset:         96
        .size:           8
        .value_kind:     global_buffer
    .group_segment_fixed_size: 15120
    .kernarg_segment_align: 8
    .kernarg_segment_size: 104
    .language:       OpenCL C
    .language_version:
      - 2
      - 0
    .max_flat_workgroup_size: 126
    .name:           bluestein_single_back_len135_dim1_sp_op_CI_CI
    .private_segment_fixed_size: 0
    .sgpr_count:     24
    .sgpr_spill_count: 0
    .symbol:         bluestein_single_back_len135_dim1_sp_op_CI_CI.kd
    .uniform_work_group_size: 1
    .uses_dynamic_stack: false
    .vgpr_count:     147
    .vgpr_spill_count: 0
    .wavefront_size: 64
amdhsa.target:   amdgcn-amd-amdhsa--gfx906
amdhsa.version:
  - 1
  - 2
...

	.end_amdgpu_metadata
